;; amdgpu-corpus repo=ROCm/rocFFT kind=compiled arch=gfx1030 opt=O3
	.text
	.amdgcn_target "amdgcn-amd-amdhsa--gfx1030"
	.amdhsa_code_object_version 6
	.protected	fft_rtc_fwd_len1200_factors_5_5_16_3_wgs_225_tpt_75_halfLds_half_op_CI_CI_unitstride_sbrr_C2R_dirReg ; -- Begin function fft_rtc_fwd_len1200_factors_5_5_16_3_wgs_225_tpt_75_halfLds_half_op_CI_CI_unitstride_sbrr_C2R_dirReg
	.globl	fft_rtc_fwd_len1200_factors_5_5_16_3_wgs_225_tpt_75_halfLds_half_op_CI_CI_unitstride_sbrr_C2R_dirReg
	.p2align	8
	.type	fft_rtc_fwd_len1200_factors_5_5_16_3_wgs_225_tpt_75_halfLds_half_op_CI_CI_unitstride_sbrr_C2R_dirReg,@function
fft_rtc_fwd_len1200_factors_5_5_16_3_wgs_225_tpt_75_halfLds_half_op_CI_CI_unitstride_sbrr_C2R_dirReg: ; @fft_rtc_fwd_len1200_factors_5_5_16_3_wgs_225_tpt_75_halfLds_half_op_CI_CI_unitstride_sbrr_C2R_dirReg
; %bb.0:
	s_load_dwordx4 s[12:15], s[4:5], 0x0
	v_mul_u32_u24_e32 v1, 0x36a, v0
	s_clause 0x1
	s_load_dwordx4 s[8:11], s[4:5], 0x58
	s_load_dwordx4 s[16:19], s[4:5], 0x18
	v_mov_b32_e32 v5, 0
	v_lshrrev_b32_e32 v3, 16, v1
	v_mov_b32_e32 v1, 0
	v_mov_b32_e32 v2, 0
	v_mad_u64_u32 v[3:4], null, s6, 3, v[3:4]
	v_mov_b32_e32 v4, v5
	v_mov_b32_e32 v17, v2
	;; [unrolled: 1-line block ×5, first 2 shown]
	s_waitcnt lgkmcnt(0)
	v_cmp_lt_u64_e64 s0, s[14:15], 2
	s_and_b32 vcc_lo, exec_lo, s0
	s_cbranch_vccnz .LBB0_8
; %bb.1:
	s_load_dwordx2 s[0:1], s[4:5], 0x10
	v_mov_b32_e32 v1, 0
	v_mov_b32_e32 v2, 0
	s_add_u32 s2, s18, 8
	v_mov_b32_e32 v8, v4
	s_addc_u32 s3, s19, 0
	v_mov_b32_e32 v7, v3
	v_mov_b32_e32 v17, v2
	s_add_u32 s6, s16, 8
	v_mov_b32_e32 v16, v1
	s_addc_u32 s7, s17, 0
	s_mov_b64 s[22:23], 1
	s_waitcnt lgkmcnt(0)
	s_add_u32 s20, s0, 8
	s_addc_u32 s21, s1, 0
.LBB0_2:                                ; =>This Inner Loop Header: Depth=1
	s_load_dwordx2 s[24:25], s[20:21], 0x0
                                        ; implicit-def: $vgpr20_vgpr21
	s_mov_b32 s0, exec_lo
	s_waitcnt lgkmcnt(0)
	v_or_b32_e32 v6, s25, v8
	v_cmpx_ne_u64_e32 0, v[5:6]
	s_xor_b32 s1, exec_lo, s0
	s_cbranch_execz .LBB0_4
; %bb.3:                                ;   in Loop: Header=BB0_2 Depth=1
	v_cvt_f32_u32_e32 v4, s24
	v_cvt_f32_u32_e32 v6, s25
	s_sub_u32 s0, 0, s24
	s_subb_u32 s26, 0, s25
	v_fmac_f32_e32 v4, 0x4f800000, v6
	v_rcp_f32_e32 v4, v4
	v_mul_f32_e32 v4, 0x5f7ffffc, v4
	v_mul_f32_e32 v6, 0x2f800000, v4
	v_trunc_f32_e32 v6, v6
	v_fmac_f32_e32 v4, 0xcf800000, v6
	v_cvt_u32_f32_e32 v6, v6
	v_cvt_u32_f32_e32 v4, v4
	v_mul_lo_u32 v9, s0, v6
	v_mul_hi_u32 v10, s0, v4
	v_mul_lo_u32 v11, s26, v4
	v_add_nc_u32_e32 v9, v10, v9
	v_mul_lo_u32 v10, s0, v4
	v_add_nc_u32_e32 v9, v9, v11
	v_mul_hi_u32 v11, v4, v10
	v_mul_lo_u32 v12, v4, v9
	v_mul_hi_u32 v13, v4, v9
	v_mul_hi_u32 v14, v6, v10
	v_mul_lo_u32 v10, v6, v10
	v_mul_hi_u32 v15, v6, v9
	v_mul_lo_u32 v9, v6, v9
	v_add_co_u32 v11, vcc_lo, v11, v12
	v_add_co_ci_u32_e32 v12, vcc_lo, 0, v13, vcc_lo
	v_add_co_u32 v10, vcc_lo, v11, v10
	v_add_co_ci_u32_e32 v10, vcc_lo, v12, v14, vcc_lo
	v_add_co_ci_u32_e32 v11, vcc_lo, 0, v15, vcc_lo
	v_add_co_u32 v9, vcc_lo, v10, v9
	v_add_co_ci_u32_e32 v10, vcc_lo, 0, v11, vcc_lo
	v_add_co_u32 v4, vcc_lo, v4, v9
	v_add_co_ci_u32_e32 v6, vcc_lo, v6, v10, vcc_lo
	v_mul_hi_u32 v9, s0, v4
	v_mul_lo_u32 v11, s26, v4
	v_mul_lo_u32 v10, s0, v6
	v_add_nc_u32_e32 v9, v9, v10
	v_mul_lo_u32 v10, s0, v4
	v_add_nc_u32_e32 v9, v9, v11
	v_mul_hi_u32 v11, v4, v10
	v_mul_lo_u32 v12, v4, v9
	v_mul_hi_u32 v13, v4, v9
	v_mul_hi_u32 v14, v6, v10
	v_mul_lo_u32 v10, v6, v10
	v_mul_hi_u32 v15, v6, v9
	v_mul_lo_u32 v9, v6, v9
	v_add_co_u32 v11, vcc_lo, v11, v12
	v_add_co_ci_u32_e32 v12, vcc_lo, 0, v13, vcc_lo
	v_add_co_u32 v10, vcc_lo, v11, v10
	v_add_co_ci_u32_e32 v10, vcc_lo, v12, v14, vcc_lo
	v_add_co_ci_u32_e32 v11, vcc_lo, 0, v15, vcc_lo
	v_add_co_u32 v9, vcc_lo, v10, v9
	v_add_co_ci_u32_e32 v10, vcc_lo, 0, v11, vcc_lo
	v_add_co_u32 v4, vcc_lo, v4, v9
	v_add_co_ci_u32_e32 v6, vcc_lo, v6, v10, vcc_lo
	v_mul_hi_u32 v15, v7, v4
	v_mad_u64_u32 v[11:12], null, v8, v4, 0
	v_mad_u64_u32 v[9:10], null, v7, v6, 0
	;; [unrolled: 1-line block ×3, first 2 shown]
	v_add_co_u32 v4, vcc_lo, v15, v9
	v_add_co_ci_u32_e32 v6, vcc_lo, 0, v10, vcc_lo
	v_add_co_u32 v4, vcc_lo, v4, v11
	v_add_co_ci_u32_e32 v4, vcc_lo, v6, v12, vcc_lo
	v_add_co_ci_u32_e32 v6, vcc_lo, 0, v14, vcc_lo
	v_add_co_u32 v4, vcc_lo, v4, v13
	v_add_co_ci_u32_e32 v6, vcc_lo, 0, v6, vcc_lo
	v_mul_lo_u32 v11, s25, v4
	v_mad_u64_u32 v[9:10], null, s24, v4, 0
	v_mul_lo_u32 v12, s24, v6
	v_sub_co_u32 v9, vcc_lo, v7, v9
	v_add3_u32 v10, v10, v12, v11
	v_sub_nc_u32_e32 v11, v8, v10
	v_subrev_co_ci_u32_e64 v11, s0, s25, v11, vcc_lo
	v_add_co_u32 v12, s0, v4, 2
	v_add_co_ci_u32_e64 v13, s0, 0, v6, s0
	v_sub_co_u32 v14, s0, v9, s24
	v_sub_co_ci_u32_e32 v10, vcc_lo, v8, v10, vcc_lo
	v_subrev_co_ci_u32_e64 v11, s0, 0, v11, s0
	v_cmp_le_u32_e32 vcc_lo, s24, v14
	v_cmp_eq_u32_e64 s0, s25, v10
	v_cndmask_b32_e64 v14, 0, -1, vcc_lo
	v_cmp_le_u32_e32 vcc_lo, s25, v11
	v_cndmask_b32_e64 v15, 0, -1, vcc_lo
	v_cmp_le_u32_e32 vcc_lo, s24, v9
	;; [unrolled: 2-line block ×3, first 2 shown]
	v_cndmask_b32_e64 v18, 0, -1, vcc_lo
	v_cmp_eq_u32_e32 vcc_lo, s25, v11
	v_cndmask_b32_e64 v9, v18, v9, s0
	v_cndmask_b32_e32 v11, v15, v14, vcc_lo
	v_add_co_u32 v14, vcc_lo, v4, 1
	v_add_co_ci_u32_e32 v15, vcc_lo, 0, v6, vcc_lo
	v_cmp_ne_u32_e32 vcc_lo, 0, v11
	v_cndmask_b32_e32 v10, v15, v13, vcc_lo
	v_cndmask_b32_e32 v11, v14, v12, vcc_lo
	v_cmp_ne_u32_e32 vcc_lo, 0, v9
	v_cndmask_b32_e32 v21, v6, v10, vcc_lo
	v_cndmask_b32_e32 v20, v4, v11, vcc_lo
.LBB0_4:                                ;   in Loop: Header=BB0_2 Depth=1
	s_andn2_saveexec_b32 s0, s1
	s_cbranch_execz .LBB0_6
; %bb.5:                                ;   in Loop: Header=BB0_2 Depth=1
	v_cvt_f32_u32_e32 v4, s24
	s_sub_i32 s1, 0, s24
	v_mov_b32_e32 v21, v5
	v_rcp_iflag_f32_e32 v4, v4
	v_mul_f32_e32 v4, 0x4f7ffffe, v4
	v_cvt_u32_f32_e32 v4, v4
	v_mul_lo_u32 v6, s1, v4
	v_mul_hi_u32 v6, v4, v6
	v_add_nc_u32_e32 v4, v4, v6
	v_mul_hi_u32 v4, v7, v4
	v_mul_lo_u32 v6, v4, s24
	v_add_nc_u32_e32 v9, 1, v4
	v_sub_nc_u32_e32 v6, v7, v6
	v_subrev_nc_u32_e32 v10, s24, v6
	v_cmp_le_u32_e32 vcc_lo, s24, v6
	v_cndmask_b32_e32 v6, v6, v10, vcc_lo
	v_cndmask_b32_e32 v4, v4, v9, vcc_lo
	v_cmp_le_u32_e32 vcc_lo, s24, v6
	v_add_nc_u32_e32 v9, 1, v4
	v_cndmask_b32_e32 v20, v4, v9, vcc_lo
.LBB0_6:                                ;   in Loop: Header=BB0_2 Depth=1
	s_or_b32 exec_lo, exec_lo, s0
	v_mul_lo_u32 v4, v21, s24
	v_mul_lo_u32 v6, v20, s25
	s_load_dwordx2 s[0:1], s[6:7], 0x0
	v_mad_u64_u32 v[9:10], null, v20, s24, 0
	s_load_dwordx2 s[24:25], s[2:3], 0x0
	s_add_u32 s22, s22, 1
	s_addc_u32 s23, s23, 0
	s_add_u32 s2, s2, 8
	s_addc_u32 s3, s3, 0
	s_add_u32 s6, s6, 8
	v_add3_u32 v4, v10, v6, v4
	v_sub_co_u32 v6, vcc_lo, v7, v9
	s_addc_u32 s7, s7, 0
	s_add_u32 s20, s20, 8
	v_sub_co_ci_u32_e32 v4, vcc_lo, v8, v4, vcc_lo
	s_addc_u32 s21, s21, 0
	s_waitcnt lgkmcnt(0)
	v_mul_lo_u32 v7, s0, v4
	v_mul_lo_u32 v8, s1, v6
	v_mad_u64_u32 v[1:2], null, s0, v6, v[1:2]
	v_mul_lo_u32 v4, s24, v4
	v_mul_lo_u32 v9, s25, v6
	v_mad_u64_u32 v[16:17], null, s24, v6, v[16:17]
	v_cmp_ge_u64_e64 s0, s[22:23], s[14:15]
	v_add3_u32 v2, v8, v2, v7
	v_add3_u32 v17, v9, v17, v4
	s_and_b32 vcc_lo, exec_lo, s0
	s_cbranch_vccnz .LBB0_8
; %bb.7:                                ;   in Loop: Header=BB0_2 Depth=1
	v_mov_b32_e32 v7, v20
	v_mov_b32_e32 v8, v21
	s_branch .LBB0_2
.LBB0_8:
	s_load_dwordx2 s[0:1], s[4:5], 0x28
	v_mul_hi_u32 v4, 0xaaaaaaab, v3
	s_lshl_b64 s[4:5], s[14:15], 3
                                        ; implicit-def: $vgpr18
	s_add_u32 s2, s18, s4
	s_addc_u32 s3, s19, s5
	v_lshrrev_b32_e32 v4, 1, v4
	v_lshl_add_u32 v5, v4, 1, v4
	v_mul_hi_u32 v4, 0x369d037, v0
	v_sub_nc_u32_e32 v3, v3, v5
	s_waitcnt lgkmcnt(0)
	v_cmp_gt_u64_e32 vcc_lo, s[0:1], v[20:21]
	v_cmp_le_u64_e64 s0, s[0:1], v[20:21]
	s_and_saveexec_b32 s1, s0
	s_xor_b32 s0, exec_lo, s1
; %bb.9:
	v_mul_u32_u24_e32 v1, 0x4b, v4
                                        ; implicit-def: $vgpr4
	v_sub_nc_u32_e32 v18, v0, v1
                                        ; implicit-def: $vgpr0
                                        ; implicit-def: $vgpr1_vgpr2
; %bb.10:
	s_or_saveexec_b32 s1, s0
	s_load_dwordx2 s[2:3], s[2:3], 0x0
	v_mul_u32_u24_e32 v41, 0x4b1, v3
	v_lshlrev_b32_e32 v43, 2, v41
	s_xor_b32 exec_lo, exec_lo, s1
	s_cbranch_execz .LBB0_14
; %bb.11:
	s_add_u32 s4, s16, s4
	s_addc_u32 s5, s17, s5
	v_lshlrev_b64 v[1:2], 2, v[1:2]
	s_load_dwordx2 s[4:5], s[4:5], 0x0
	s_waitcnt lgkmcnt(0)
	v_mul_lo_u32 v3, s5, v20
	v_mul_lo_u32 v7, s4, v21
	v_mad_u64_u32 v[5:6], null, s4, v20, 0
	s_mov_b32 s4, exec_lo
	v_add3_u32 v6, v6, v7, v3
	v_mul_u32_u24_e32 v7, 0x4b, v4
	v_lshlrev_b64 v[3:4], 2, v[5:6]
	v_sub_nc_u32_e32 v18, v0, v7
	v_lshlrev_b32_e32 v8, 2, v18
	v_add_co_u32 v0, s0, s8, v3
	v_add_co_ci_u32_e64 v3, s0, s9, v4, s0
	v_add_co_u32 v0, s0, v0, v1
	v_add_co_ci_u32_e64 v1, s0, v3, v2, s0
	;; [unrolled: 2-line block ×5, first 2 shown]
	s_clause 0xf
	global_load_dword v9, v[2:3], off
	global_load_dword v10, v[2:3], off offset:300
	global_load_dword v11, v[2:3], off offset:600
	global_load_dword v12, v[2:3], off offset:900
	global_load_dword v13, v[2:3], off offset:1200
	global_load_dword v14, v[2:3], off offset:1500
	global_load_dword v3, v[2:3], off offset:1800
	global_load_dword v15, v[4:5], off offset:52
	global_load_dword v19, v[4:5], off offset:352
	global_load_dword v22, v[4:5], off offset:652
	global_load_dword v23, v[4:5], off offset:952
	global_load_dword v24, v[4:5], off offset:1252
	global_load_dword v25, v[4:5], off offset:1552
	global_load_dword v4, v[4:5], off offset:1852
	global_load_dword v5, v[6:7], off offset:104
	global_load_dword v6, v[6:7], off offset:404
	v_add3_u32 v2, 0, v43, v8
	v_add_nc_u32_e32 v7, 0x400, v2
	v_add_nc_u32_e32 v8, 0x600, v2
	;; [unrolled: 1-line block ×6, first 2 shown]
	s_waitcnt vmcnt(14)
	ds_write2_b32 v2, v9, v10 offset1:75
	s_waitcnt vmcnt(12)
	ds_write2_b32 v2, v11, v12 offset0:150 offset1:225
	s_waitcnt vmcnt(10)
	ds_write2_b32 v7, v13, v14 offset0:44 offset1:119
	;; [unrolled: 2-line block ×7, first 2 shown]
	v_cmpx_eq_u32_e32 0x4a, v18
	s_cbranch_execz .LBB0_13
; %bb.12:
	v_add_co_u32 v0, s0, 0x1000, v0
	v_add_co_ci_u32_e64 v1, s0, 0, v1, s0
	v_mov_b32_e32 v18, 0x4a
	global_load_dword v0, v[0:1], off offset:704
	s_waitcnt vmcnt(0)
	ds_write_b32 v2, v0 offset:4504
.LBB0_13:
	s_or_b32 exec_lo, exec_lo, s4
.LBB0_14:
	s_or_b32 exec_lo, exec_lo, s1
	v_lshl_add_u32 v40, v41, 2, 0
	v_lshlrev_b32_e32 v0, 2, v18
	s_waitcnt lgkmcnt(0)
	s_barrier
	buffer_gl0_inv
	s_add_u32 s1, s12, 0x12ac
	v_add_nc_u32_e32 v42, v40, v0
	v_sub_nc_u32_e32 v2, v40, v0
	s_addc_u32 s4, s13, 0
	s_mov_b32 s5, exec_lo
	ds_read_u16 v5, v42
	ds_read_u16 v6, v2 offset:4800
                                        ; implicit-def: $vgpr0_vgpr1
	s_waitcnt lgkmcnt(0)
	v_add_f16_e32 v4, v6, v5
	v_sub_f16_e32 v3, v5, v6
	v_cmpx_ne_u32_e32 0, v18
	s_xor_b32 s5, exec_lo, s5
	s_cbranch_execz .LBB0_16
; %bb.15:
	v_mov_b32_e32 v19, 0
	v_add_f16_e32 v4, v6, v5
	v_sub_f16_e32 v5, v5, v6
	v_lshlrev_b64 v[0:1], 2, v[18:19]
	v_add_co_u32 v0, s0, s1, v0
	v_add_co_ci_u32_e64 v1, s0, s4, v1, s0
	global_load_dword v0, v[0:1], off
	ds_read_u16 v1, v2 offset:4802
	ds_read_u16 v3, v42 offset:2
	s_waitcnt lgkmcnt(0)
	v_add_f16_e32 v6, v1, v3
	v_sub_f16_e32 v1, v3, v1
	s_waitcnt vmcnt(0)
	v_lshrrev_b32_e32 v7, 16, v0
	v_fma_f16 v8, -v5, v7, v4
	v_fma_f16 v9, v6, v7, -v1
	v_fma_f16 v3, v6, v7, v1
	v_fma_f16 v4, v5, v7, v4
	v_fmac_f16_e32 v8, v0, v6
	v_fmac_f16_e32 v9, v5, v0
	;; [unrolled: 1-line block ×3, first 2 shown]
	v_fma_f16 v4, -v0, v6, v4
	v_mov_b32_e32 v0, v18
	v_mov_b32_e32 v1, v19
	v_pack_b32_f16 v5, v8, v9
	ds_write_b32 v2, v5 offset:4800
.LBB0_16:
	s_andn2_saveexec_b32 s0, s5
	s_cbranch_execz .LBB0_18
; %bb.17:
	ds_read_b32 v0, v40 offset:2400
	s_waitcnt lgkmcnt(0)
	v_pk_mul_f16 v5, 0xc0004000, v0
	v_mov_b32_e32 v0, 0
	v_mov_b32_e32 v1, 0
	ds_write_b32 v40, v5 offset:2400
.LBB0_18:
	s_or_b32 exec_lo, exec_lo, s0
	v_lshlrev_b64 v[0:1], 2, v[0:1]
	v_lshl_add_u32 v44, v18, 2, 0
	v_add_nc_u32_e32 v19, v44, v43
	v_add_co_u32 v0, s0, s1, v0
	v_add_co_ci_u32_e64 v1, s0, s4, v1, s0
	s_clause 0x5
	global_load_dword v5, v[0:1], off offset:300
	global_load_dword v6, v[0:1], off offset:600
	;; [unrolled: 1-line block ×6, first 2 shown]
	v_add_co_u32 v0, s0, 0x800, v0
	v_add_co_ci_u32_e64 v1, s0, 0, v1, s0
	v_cmp_gt_u32_e64 s0, 15, v18
	global_load_dword v0, v[0:1], off offset:52
	v_perm_b32 v1, v3, v4, 0x5040100
	ds_write_b32 v42, v1
	ds_read_b32 v1, v42 offset:300
	ds_read_b32 v3, v2 offset:4500
	s_waitcnt lgkmcnt(0)
	v_add_f16_e32 v4, v1, v3
	v_add_f16_sdwa v11, v3, v1 dst_sel:DWORD dst_unused:UNUSED_PAD src0_sel:WORD_1 src1_sel:WORD_1
	v_sub_f16_e32 v12, v1, v3
	v_sub_f16_sdwa v1, v1, v3 dst_sel:DWORD dst_unused:UNUSED_PAD src0_sel:WORD_1 src1_sel:WORD_1
	s_waitcnt vmcnt(6)
	v_lshrrev_b32_e32 v13, 16, v5
	v_fma_f16 v3, v12, v13, v4
	v_fma_f16 v14, v11, v13, v1
	v_fma_f16 v4, -v12, v13, v4
	v_fma_f16 v1, v11, v13, -v1
	v_fma_f16 v3, -v5, v11, v3
	v_fmac_f16_e32 v14, v12, v5
	v_fmac_f16_e32 v4, v5, v11
	;; [unrolled: 1-line block ×3, first 2 shown]
	v_pack_b32_f16 v3, v3, v14
	v_pack_b32_f16 v1, v4, v1
	ds_write_b32 v42, v3 offset:300
	ds_write_b32 v2, v1 offset:4500
	ds_read_b32 v1, v42 offset:600
	ds_read_b32 v3, v2 offset:4200
	s_waitcnt vmcnt(5)
	v_lshrrev_b32_e32 v4, 16, v6
	s_waitcnt lgkmcnt(0)
	v_add_f16_e32 v5, v1, v3
	v_add_f16_sdwa v11, v3, v1 dst_sel:DWORD dst_unused:UNUSED_PAD src0_sel:WORD_1 src1_sel:WORD_1
	v_sub_f16_e32 v12, v1, v3
	v_sub_f16_sdwa v1, v1, v3 dst_sel:DWORD dst_unused:UNUSED_PAD src0_sel:WORD_1 src1_sel:WORD_1
	v_fma_f16 v3, v12, v4, v5
	v_fma_f16 v13, v11, v4, v1
	v_fma_f16 v5, -v12, v4, v5
	v_fma_f16 v1, v11, v4, -v1
	s_waitcnt vmcnt(4)
	v_lshrrev_b32_e32 v4, 16, v7
	v_fma_f16 v3, -v6, v11, v3
	v_fmac_f16_e32 v13, v12, v6
	v_fmac_f16_e32 v5, v6, v11
	v_fmac_f16_e32 v1, v12, v6
	v_pack_b32_f16 v3, v3, v13
	v_pack_b32_f16 v1, v5, v1
	ds_write_b32 v42, v3 offset:600
	ds_write_b32 v2, v1 offset:4200
	ds_read_b32 v1, v42 offset:900
	ds_read_b32 v3, v2 offset:3900
	s_waitcnt lgkmcnt(0)
	v_add_f16_e32 v5, v1, v3
	v_add_f16_sdwa v6, v3, v1 dst_sel:DWORD dst_unused:UNUSED_PAD src0_sel:WORD_1 src1_sel:WORD_1
	v_sub_f16_e32 v11, v1, v3
	v_sub_f16_sdwa v1, v1, v3 dst_sel:DWORD dst_unused:UNUSED_PAD src0_sel:WORD_1 src1_sel:WORD_1
	v_fma_f16 v3, v11, v4, v5
	v_fma_f16 v12, v6, v4, v1
	v_fma_f16 v5, -v11, v4, v5
	v_fma_f16 v1, v6, v4, -v1
	s_waitcnt vmcnt(3)
	v_lshrrev_b32_e32 v4, 16, v8
	v_fma_f16 v3, -v7, v6, v3
	v_fmac_f16_e32 v12, v11, v7
	v_fmac_f16_e32 v5, v7, v6
	v_fmac_f16_e32 v1, v11, v7
	v_pack_b32_f16 v3, v3, v12
	v_pack_b32_f16 v1, v5, v1
	ds_write_b32 v42, v3 offset:900
	ds_write_b32 v2, v1 offset:3900
	ds_read_b32 v1, v42 offset:1200
	ds_read_b32 v3, v2 offset:3600
	;; [unrolled: 21-line block ×5, first 2 shown]
	s_waitcnt lgkmcnt(0)
	v_add_f16_e32 v5, v1, v3
	v_add_f16_sdwa v6, v3, v1 dst_sel:DWORD dst_unused:UNUSED_PAD src0_sel:WORD_1 src1_sel:WORD_1
	v_sub_f16_e32 v7, v1, v3
	v_sub_f16_sdwa v1, v1, v3 dst_sel:DWORD dst_unused:UNUSED_PAD src0_sel:WORD_1 src1_sel:WORD_1
	v_fma_f16 v3, v7, v4, v5
	v_fma_f16 v8, v6, v4, v1
	v_fma_f16 v5, -v7, v4, v5
	v_fma_f16 v1, v6, v4, -v1
	v_mad_u32_u24 v4, v18, 20, 0
	v_fma_f16 v3, -v0, v6, v3
	v_fmac_f16_e32 v8, v7, v0
	v_fmac_f16_e32 v5, v0, v6
	;; [unrolled: 1-line block ×3, first 2 shown]
	v_add_nc_u32_e32 v0, 0x800, v19
	v_add_nc_u32_e32 v15, v4, v43
	v_pack_b32_f16 v6, v3, v8
	v_add_nc_u32_e32 v3, 0x400, v19
	v_pack_b32_f16 v5, v5, v1
	v_add_nc_u32_e32 v1, 0xc00, v19
	ds_write_b32 v42, v6 offset:2100
	ds_write_b32 v2, v5 offset:2700
	s_waitcnt lgkmcnt(0)
	s_barrier
	buffer_gl0_inv
	s_barrier
	buffer_gl0_inv
	ds_read2_b32 v[5:6], v19 offset0:225 offset1:240
	ds_read2_b32 v[7:8], v3 offset0:209 offset1:224
	;; [unrolled: 1-line block ×3, first 2 shown]
	ds_read_b32 v30, v19 offset:4740
	ds_read2_b32 v[11:12], v1 offset0:177 offset1:192
	ds_read_b32 v32, v42
	v_add_nc_u32_e32 v2, 0x1000, v19
	ds_read2_b32 v[13:14], v19 offset0:75 offset1:150
	ds_read2_b32 v[22:23], v3 offset0:59 offset1:134
	;; [unrolled: 1-line block ×5, first 2 shown]
	v_add_nc_u32_e32 v4, 0xbb8, v4
	v_add_nc_u32_e32 v31, 0x5dc, v15
	v_add_nc_u32_e32 v33, 0x5e4, v15
	s_waitcnt lgkmcnt(0)
	s_barrier
	v_add_nc_u32_e32 v34, v4, v43
	buffer_gl0_inv
	v_pk_add_f16 v35, v5, v7
	v_pk_add_f16 v39, v9, v7 neg_lo:[0,1] neg_hi:[0,1]
	v_pk_add_f16 v36, v7, v30 neg_lo:[0,1] neg_hi:[0,1]
	v_pk_add_f16 v37, v9, v11 neg_lo:[0,1] neg_hi:[0,1]
	v_pk_add_f16 v38, v7, v30
	v_pk_add_f16 v45, v11, v30 neg_lo:[0,1] neg_hi:[0,1]
	v_pk_add_f16 v46, v9, v11
	v_pk_add_f16 v7, v7, v9 neg_lo:[0,1] neg_hi:[0,1]
	v_pk_add_f16 v47, v30, v11 neg_lo:[0,1] neg_hi:[0,1]
	v_pk_add_f16 v48, v32, v6
	v_pk_add_f16 v49, v8, v10
	v_pk_add_f16 v50, v6, v12 neg_lo:[0,1] neg_hi:[0,1]
	v_pk_add_f16 v52, v6, v8 neg_lo:[0,1] neg_hi:[0,1]
	;; [unrolled: 1-line block ×4, first 2 shown]
	v_pk_add_f16 v54, v6, v12
	v_pk_add_f16 v6, v8, v6 neg_lo:[0,1] neg_hi:[0,1]
	v_pk_add_f16 v55, v10, v12 neg_lo:[0,1] neg_hi:[0,1]
	v_pk_add_f16 v56, v13, v22
	v_pk_add_f16 v57, v24, v26
	v_pk_add_f16 v58, v22, v28 neg_lo:[0,1] neg_hi:[0,1]
	v_pk_add_f16 v59, v24, v26 neg_lo:[0,1] neg_hi:[0,1]
	v_pk_add_f16 v60, v22, v24 neg_lo:[0,1] neg_hi:[0,1]
	v_pk_add_f16 v62, v22, v28
	v_pk_add_f16 v22, v24, v22 neg_lo:[0,1] neg_hi:[0,1]
	v_pk_add_f16 v68, v26, v28 neg_lo:[0,1] neg_hi:[0,1]
	;; [unrolled: 1-line block ×3, first 2 shown]
	v_pk_add_f16 v63, v25, v27
	v_pk_add_f16 v64, v23, v29
	;; [unrolled: 1-line block ×3, first 2 shown]
	v_pk_add_f16 v66, v23, v29 neg_lo:[0,1] neg_hi:[0,1]
	v_pk_add_f16 v69, v25, v27 neg_lo:[0,1] neg_hi:[0,1]
	v_pk_fma_f16 v38, v38, 0.5, v5 op_sel_hi:[1,0,1] neg_lo:[1,0,0] neg_hi:[1,0,0]
	v_pk_fma_f16 v5, v46, 0.5, v5 op_sel_hi:[1,0,1] neg_lo:[1,0,0] neg_hi:[1,0,0]
	v_pk_add_f16 v8, v48, v8
	v_pk_add_f16 v39, v39, v45
	;; [unrolled: 1-line block ×4, first 2 shown]
	v_pk_mul_f16 v35, 0x3b9c, v37 op_sel_hi:[0,1]
	v_pk_add_f16 v45, v52, v53
	v_pk_mul_f16 v47, 0x38b4, v36 op_sel_hi:[0,1]
	v_pk_mul_f16 v36, 0x3b9c, v36 op_sel_hi:[0,1]
	v_pk_fma_f16 v49, v49, 0.5, v32 op_sel_hi:[1,0,1] neg_lo:[1,0,0] neg_hi:[1,0,0]
	v_pk_mul_f16 v52, 0x3b9c, v50 op_sel_hi:[0,1]
	v_pk_fma_f16 v32, v54, 0.5, v32 op_sel_hi:[1,0,1] neg_lo:[1,0,0] neg_hi:[1,0,0]
	v_pk_mul_f16 v53, 0x38b4, v51 op_sel_hi:[0,1]
	v_pk_mul_f16 v51, 0x3b9c, v51 op_sel_hi:[0,1]
	v_pk_fma_f16 v46, v57, 0.5, v13 op_sel_hi:[1,0,1] neg_lo:[1,0,0] neg_hi:[1,0,0]
	v_pk_add_f16 v24, v56, v24
	v_pk_add_f16 v6, v6, v55
	v_pk_mul_f16 v55, 0x3b9c, v58 op_sel_hi:[0,1]
	v_pk_fma_f16 v13, v62, 0.5, v13 op_sel_hi:[1,0,1] neg_lo:[1,0,0] neg_hi:[1,0,0]
	v_pk_add_f16 v56, v22, v68
	v_pk_mul_f16 v22, 0x3b9c, v59 op_sel_hi:[0,1]
	v_pk_add_f16 v67, v23, v25 neg_lo:[0,1] neg_hi:[0,1]
	v_pk_add_f16 v23, v25, v23 neg_lo:[0,1] neg_hi:[0,1]
	;; [unrolled: 1-line block ×3, first 2 shown]
	v_pk_fma_f16 v48, v63, 0.5, v14 op_sel_hi:[1,0,1] neg_lo:[1,0,0] neg_hi:[1,0,0]
	v_pk_fma_f16 v14, v64, 0.5, v14 op_sel_hi:[1,0,1] neg_lo:[1,0,0] neg_hi:[1,0,0]
	v_pk_add_f16 v25, v65, v25
	v_pk_mul_f16 v37, 0x38b4, v37 op_sel_hi:[0,1]
	v_pk_add_f16 v54, v60, v61
	v_pk_mul_f16 v60, 0x3b9c, v66 op_sel_hi:[0,1]
	v_pk_mul_f16 v62, 0x3b9c, v69 op_sel_hi:[0,1]
	v_pk_add_f16 v64, v38, v35 op_sel:[0,1] op_sel_hi:[1,0] neg_lo:[0,1] neg_hi:[0,1]
	v_pk_add_f16 v35, v35, v38 op_sel:[1,0] op_sel_hi:[0,1]
	v_pk_add_f16 v38, v5, v36 op_sel:[0,1] op_sel_hi:[1,0] neg_lo:[0,1] neg_hi:[0,1]
	v_pk_add_f16 v5, v5, v36 op_sel:[0,1] op_sel_hi:[1,0]
	v_pk_add_f16 v9, v9, v11
	v_pk_add_f16 v8, v8, v10
	v_pk_add_f16 v10, v49, v52 op_sel:[0,1] op_sel_hi:[1,0]
	v_pk_add_f16 v11, v49, v52 op_sel:[0,1] op_sel_hi:[1,0] neg_lo:[0,1] neg_hi:[0,1]
	v_pk_mul_f16 v50, 0x38b4, v50 op_sel_hi:[0,1]
	v_pk_add_f16 v36, v32, v51 op_sel:[0,1] op_sel_hi:[1,0] neg_lo:[0,1] neg_hi:[0,1]
	v_pk_add_f16 v32, v32, v51 op_sel:[0,1] op_sel_hi:[1,0]
	v_pk_mul_f16 v57, 0x38b4, v59 op_sel_hi:[0,1]
	v_pk_add_f16 v24, v24, v26
	v_pk_add_f16 v26, v46, v55 op_sel:[0,1] op_sel_hi:[1,0]
	v_pk_add_f16 v46, v46, v55 op_sel:[0,1] op_sel_hi:[1,0] neg_lo:[0,1] neg_hi:[0,1]
	v_pk_mul_f16 v58, 0x38b4, v58 op_sel_hi:[0,1]
	v_pk_add_f16 v49, v13, v22 op_sel:[0,1] op_sel_hi:[1,0] neg_lo:[0,1] neg_hi:[0,1]
	v_pk_add_f16 v13, v13, v22 op_sel:[0,1] op_sel_hi:[1,0]
	v_pk_add_f16 v70, v29, v27 neg_lo:[0,1] neg_hi:[0,1]
	v_pk_add_f16 v61, v23, v71
	v_pk_mul_f16 v23, 0x38b4, v69 op_sel_hi:[0,1]
	v_pk_mul_f16 v63, 0x38b4, v66 op_sel_hi:[0,1]
	v_pk_add_f16 v25, v25, v27
	v_pk_add_f16 v27, v48, v60 op_sel:[0,1] op_sel_hi:[1,0]
	v_pk_add_f16 v48, v48, v60 op_sel:[0,1] op_sel_hi:[1,0] neg_lo:[0,1] neg_hi:[0,1]
	v_pk_add_f16 v51, v14, v62 op_sel:[0,1] op_sel_hi:[1,0] neg_lo:[0,1] neg_hi:[0,1]
	v_pk_add_f16 v14, v14, v62 op_sel:[0,1] op_sel_hi:[1,0]
	v_pk_add_f16 v22, v9, v30
	v_pk_add_f16 v9, v47, v64 op_sel:[1,0] op_sel_hi:[0,1]
	v_pk_add_f16 v30, v35, v47 op_sel:[0,1] op_sel_hi:[1,0] neg_lo:[0,1] neg_hi:[0,1]
	v_pk_add_f16 v5, v5, v37 op_sel:[0,1] op_sel_hi:[1,0]
	v_pk_add_f16 v35, v38, v37 op_sel:[0,1] op_sel_hi:[1,0] neg_lo:[0,1] neg_hi:[0,1]
	;; [unrolled: 2-line block ×3, first 2 shown]
	v_pk_add_f16 v8, v8, v12
	v_pk_add_f16 v12, v36, v50 op_sel:[0,1] op_sel_hi:[1,0]
	v_pk_add_f16 v32, v32, v50 op_sel:[0,1] op_sel_hi:[1,0] neg_lo:[0,1] neg_hi:[0,1]
	v_pk_add_f16 v24, v24, v28
	v_pk_add_f16 v28, v26, v57 op_sel:[0,1] op_sel_hi:[1,0]
	v_pk_add_f16 v36, v46, v57 op_sel:[0,1] op_sel_hi:[1,0] neg_lo:[0,1] neg_hi:[0,1]
	v_pk_add_f16 v37, v49, v58 op_sel:[0,1] op_sel_hi:[1,0]
	v_pk_add_f16 v13, v13, v58 op_sel:[0,1] op_sel_hi:[1,0] neg_lo:[0,1] neg_hi:[0,1]
	v_pk_add_f16 v25, v25, v29
	v_pk_add_f16 v27, v27, v23 op_sel:[0,1] op_sel_hi:[1,0]
	v_pk_add_f16 v23, v48, v23 op_sel:[0,1] op_sel_hi:[1,0] neg_lo:[0,1] neg_hi:[0,1]
	v_pk_add_f16 v29, v51, v63 op_sel:[0,1] op_sel_hi:[1,0]
	v_pk_add_f16 v14, v14, v63 op_sel:[0,1] op_sel_hi:[1,0] neg_lo:[0,1] neg_hi:[0,1]
	v_pk_fma_f16 v26, 0x34f2, v39, v9 op_sel_hi:[0,1,1]
	v_bfi_b32 v9, 0xffff, v5, v35
	v_bfi_b32 v5, 0xffff, v35, v5
	v_pk_fma_f16 v51, 0x34f2, v39, v30 op_sel_hi:[0,1,1]
	v_bfi_b32 v30, 0xffff, v10, v11
	v_bfi_b32 v35, 0xffff, v12, v32
	;; [unrolled: 1-line block ×7, first 2 shown]
	v_pk_add_f16 v59, v67, v70
	v_bfi_b32 v28, 0xffff, v36, v28
	v_bfi_b32 v36, 0xffff, v27, v23
	;; [unrolled: 1-line block ×5, first 2 shown]
	v_pk_fma_f16 v23, 0x34f2, v7, v9 op_sel_hi:[0,1,1]
	v_pk_fma_f16 v52, 0x34f2, v7, v5 op_sel_hi:[0,1,1]
	v_lshrrev_b32_e32 v53, 16, v26
	v_pk_fma_f16 v5, 0x34f2, v45, v30 op_sel_hi:[0,1,1]
	v_pk_fma_f16 v7, 0x34f2, v6, v35 op_sel_hi:[0,1,1]
	;; [unrolled: 1-line block ×12, first 2 shown]
	ds_write2_b32 v15, v8, v5 offset1:1
	ds_write2_b32 v15, v7, v6 offset0:2 offset1:3
	ds_write_b32 v15, v9 offset:16
	ds_write2_b32 v31, v24, v10 offset1:1
	ds_write2_b32 v33, v11, v12 offset1:1
	ds_write_b32 v15, v13 offset:1516
	ds_write2_b32 v34, v25, v28 offset1:1
	ds_write2_b32 v34, v29, v14 offset0:2 offset1:3
	ds_write_b32 v34, v27 offset:16
	s_and_saveexec_b32 s1, s0
	s_cbranch_execz .LBB0_20
; %bb.19:
	v_lshl_add_u32 v4, v41, 2, v4
	v_alignbit_b32 v6, v51, v51, 16
	v_add_nc_u32_e32 v5, 0x5dc, v4
	ds_write_b16 v4, v26 offset:1508
	ds_write_b16 v4, v53 offset:1514
	ds_write2_b32 v5, v22, v23 offset1:1
	ds_write_b32 v4, v6 offset:1510
	ds_write_b32 v4, v52 offset:1516
.LBB0_20:
	s_or_b32 exec_lo, exec_lo, s1
	v_add_nc_u32_e32 v4, 0x200, v19
	v_add_nc_u32_e32 v5, 0xa00, v19
	s_waitcnt lgkmcnt(0)
	s_barrier
	buffer_gl0_inv
	ds_read_b32 v48, v42
	ds_read2_b32 v[34:35], v4 offset0:112 offset1:187
	ds_read2_b32 v[28:29], v3 offset0:134 offset1:224
	ds_read2_b32 v[38:39], v5 offset0:80 offset1:155
	ds_read2_b32 v[30:31], v1 offset0:102 offset1:192
	ds_read2_b32 v[24:25], v19 offset0:75 offset1:150
	ds_read2_b32 v[36:37], v0 offset0:43 offset1:118
	ds_read2_b32 v[32:33], v2 offset0:11 offset1:86
	v_lshrrev_b32_e32 v57, 16, v52
	s_and_saveexec_b32 s1, s0
	s_cbranch_execz .LBB0_22
; %bb.21:
	v_add_nc_u32_e32 v0, 0xb00, v19
	ds_read_b32 v52, v19 offset:4740
	ds_read2_b32 v[26:27], v0 offset0:1 offset1:241
	v_add_nc_u32_e32 v0, 0x380, v19
	ds_read2_b32 v[22:23], v0 offset0:1 offset1:241
	s_waitcnt lgkmcnt(2)
	v_lshrrev_b32_e32 v57, 16, v52
	s_waitcnt lgkmcnt(1)
	v_lshrrev_b32_e32 v53, 16, v27
	v_bfi_b32 v51, 0xffff, v27, v26
.LBB0_22:
	s_or_b32 exec_lo, exec_lo, s1
	v_and_b32_e32 v47, 0xff, v18
	v_add_nc_u32_e32 v27, 0x4b, v18
	v_add_nc_u32_e32 v45, 0x96, v18
	v_mov_b32_e32 v2, 4
	v_add_nc_u32_e32 v46, 0xe1, v18
	v_mul_lo_u16 v0, 0xcd, v47
	v_and_b32_e32 v1, 0xff, v27
	v_mov_b32_e32 v49, 2
	s_waitcnt lgkmcnt(6)
	v_lshrrev_b32_e32 v68, 16, v34
	s_waitcnt lgkmcnt(5)
	v_lshrrev_b32_e32 v67, 16, v29
	v_lshrrev_b16 v69, 10, v0
	s_waitcnt lgkmcnt(4)
	v_lshrrev_b32_e32 v66, 16, v38
	s_waitcnt lgkmcnt(3)
	v_lshrrev_b32_e32 v65, 16, v31
	s_waitcnt lgkmcnt(0)
	v_lshrrev_b32_e32 v62, 16, v32
	v_lshrrev_b32_e32 v60, 16, v28
	v_mul_lo_u16 v0, v69, 5
	v_and_b32_e32 v69, 0xffff, v69
	v_lshrrev_b32_e32 v61, 16, v37
	v_lshrrev_b32_e32 v59, 16, v30
	;; [unrolled: 1-line block ×3, first 2 shown]
	v_sub_nc_u16 v70, v18, v0
	v_mul_lo_u16 v0, 0xcd, v1
	v_and_b32_e32 v1, 0xff, v45
	v_mad_u32_u24 v77, 0x64, v69, 0
	v_lshrrev_b32_e32 v63, 16, v35
	v_lshlrev_b32_sdwa v3, v2, v70 dst_sel:DWORD dst_unused:UNUSED_PAD src0_sel:DWORD src1_sel:BYTE_0
	v_lshrrev_b16 v71, 10, v0
	v_mul_lo_u16 v0, 0xcd, v1
	v_lshlrev_b32_sdwa v70, v49, v70 dst_sel:DWORD dst_unused:UNUSED_PAD src0_sel:DWORD src1_sel:BYTE_0
	v_lshrrev_b32_e32 v64, 16, v36
	global_load_dwordx4 v[4:7], v3, s[12:13]
	v_mul_lo_u16 v1, v71, 5
	v_lshrrev_b16 v72, 10, v0
	v_and_b32_e32 v71, 0xffff, v71
	v_lshrrev_b32_e32 v75, 16, v39
	v_lshrrev_b32_e32 v76, 16, v23
	v_sub_nc_u16 v73, v27, v1
	v_mul_lo_u16 v1, v72, 5
	v_and_b32_e32 v72, 0xffff, v72
	v_mad_u32_u24 v71, 0x64, v71, 0
	v_lshrrev_b32_e32 v78, 16, v51
	v_add3_u32 v70, v77, v70, v43
	v_sub_nc_u16 v74, v45, v1
	v_mad_u32_u24 v72, 0x64, v72, 0
	v_lshrrev_b32_e32 v56, 16, v48
	v_lshrrev_b32_e32 v55, 16, v24
	;; [unrolled: 1-line block ×3, first 2 shown]
	v_lshlrev_b32_sdwa v1, v2, v74 dst_sel:DWORD dst_unused:UNUSED_PAD src0_sel:DWORD src1_sel:BYTE_0
	v_lshlrev_b32_sdwa v74, v49, v74 dst_sel:DWORD dst_unused:UNUSED_PAD src0_sel:DWORD src1_sel:BYTE_0
	v_lshrrev_b32_e32 v69, 16, v22
	global_load_dwordx4 v[8:11], v1, s[12:13]
	v_mov_b32_e32 v3, 0xcccd
	v_add3_u32 v72, v72, v74, v43
	v_mul_u32_u24_sdwa v0, v46, v3 dst_sel:DWORD dst_unused:UNUSED_PAD src0_sel:WORD_0 src1_sel:DWORD
	v_lshlrev_b32_sdwa v3, v2, v73 dst_sel:DWORD dst_unused:UNUSED_PAD src0_sel:DWORD src1_sel:BYTE_0
	v_lshlrev_b32_sdwa v73, v49, v73 dst_sel:DWORD dst_unused:UNUSED_PAD src0_sel:DWORD src1_sel:BYTE_0
	v_lshrrev_b32_e32 v0, 18, v0
	global_load_dwordx4 v[12:15], v3, s[12:13]
	v_add3_u32 v71, v71, v73, v43
	v_mul_lo_u16 v0, v0, 5
	v_sub_nc_u16 v50, v46, v0
	v_lshlrev_b32_sdwa v0, v2, v50 dst_sel:DWORD dst_unused:UNUSED_PAD src0_sel:DWORD src1_sel:WORD_0
	global_load_dwordx4 v[0:3], v0, s[12:13]
	s_waitcnt vmcnt(0)
	s_barrier
	buffer_gl0_inv
	v_mul_f16_sdwa v73, v4, v68 dst_sel:DWORD dst_unused:UNUSED_PAD src0_sel:WORD_1 src1_sel:DWORD
	v_mul_f16_sdwa v74, v4, v34 dst_sel:DWORD dst_unused:UNUSED_PAD src0_sel:WORD_1 src1_sel:DWORD
	;; [unrolled: 1-line block ×8, first 2 shown]
	v_fma_f16 v34, v4, v34, -v73
	v_fmac_f16_e32 v74, v4, v68
	v_fma_f16 v29, v5, v29, -v77
	v_fmac_f16_e32 v79, v5, v67
	;; [unrolled: 2-line block ×4, first 2 shown]
	v_mul_f16_sdwa v84, v60, v8 dst_sel:DWORD dst_unused:UNUSED_PAD src0_sel:DWORD src1_sel:WORD_1
	v_mul_f16_sdwa v85, v28, v8 dst_sel:DWORD dst_unused:UNUSED_PAD src0_sel:DWORD src1_sel:WORD_1
	;; [unrolled: 1-line block ×8, first 2 shown]
	v_fmac_f16_e32 v85, v60, v8
	v_fmac_f16_e32 v87, v61, v9
	;; [unrolled: 1-line block ×3, first 2 shown]
	v_fma_f16 v33, v33, v11, -v90
	v_mul_f16_sdwa v31, v12, v63 dst_sel:DWORD dst_unused:UNUSED_PAD src0_sel:WORD_1 src1_sel:DWORD
	v_mul_f16_sdwa v65, v12, v35 dst_sel:DWORD dst_unused:UNUSED_PAD src0_sel:WORD_1 src1_sel:DWORD
	;; [unrolled: 1-line block ×6, first 2 shown]
	v_mul_f16_sdwa v80, v62, v15 dst_sel:DWORD dst_unused:UNUSED_PAD src0_sel:DWORD src1_sel:WORD_1
	v_mul_f16_sdwa v82, v32, v15 dst_sel:DWORD dst_unused:UNUSED_PAD src0_sel:DWORD src1_sel:WORD_1
	v_fma_f16 v31, v12, v35, -v31
	v_fma_f16 v35, v14, v39, -v73
	v_fmac_f16_e32 v65, v12, v63
	v_fmac_f16_e32 v68, v13, v64
	;; [unrolled: 1-line block ×4, first 2 shown]
	v_fma_f16 v12, v13, v36, -v67
	v_fma_f16 v36, v32, v15, -v80
	;; [unrolled: 1-line block ×5, first 2 shown]
	v_mul_f16_sdwa v92, v76, v0 dst_sel:DWORD dst_unused:UNUSED_PAD src0_sel:DWORD src1_sel:WORD_1
	v_mul_f16_sdwa v7, v23, v0 dst_sel:DWORD dst_unused:UNUSED_PAD src0_sel:DWORD src1_sel:WORD_1
	;; [unrolled: 1-line block ×8, first 2 shown]
	v_fmac_f16_e32 v91, v58, v11
	v_fma_f16 v9, v23, v0, -v92
	v_fmac_f16_e32 v7, v76, v0
	v_fma_f16 v8, v26, v1, -v93
	;; [unrolled: 2-line block ×4, first 2 shown]
	v_fmac_f16_e32 v4, v57, v3
	v_add_f16_e32 v2, v48, v34
	v_sub_f16_e32 v10, v34, v29
	v_sub_f16_e32 v11, v66, v38
	;; [unrolled: 1-line block ×4, first 2 shown]
	v_add_f16_e32 v32, v56, v74
	v_add_f16_e32 v37, v79, v81
	v_sub_f16_e32 v51, v74, v79
	v_sub_f16_e32 v52, v83, v81
	v_add_f16_e32 v53, v74, v83
	v_sub_f16_e32 v57, v79, v74
	v_sub_f16_e32 v58, v81, v83
	v_add_f16_e32 v3, v29, v38
	v_add_f16_e32 v15, v34, v66
	v_sub_f16_e32 v23, v79, v81
	v_sub_f16_e32 v39, v29, v38
	v_add_f16_e32 v29, v2, v29
	v_add_f16_e32 v61, v10, v11
	;; [unrolled: 1-line block ×4, first 2 shown]
	v_fma_f16 v37, -0.5, v37, v56
	v_add_f16_e32 v51, v51, v52
	v_fmac_f16_e32 v56, -0.5, v53
	v_add_f16_e32 v52, v57, v58
	v_sub_f16_e32 v11, v31, v12
	v_sub_f16_e32 v26, v36, v35
	v_add_f16_e32 v57, v55, v65
	v_add_f16_e32 v58, v68, v77
	;; [unrolled: 1-line block ×4, first 2 shown]
	v_sub_f16_e32 v78, v13, v14
	v_sub_f16_e32 v79, v33, v28
	v_add_f16_e32 v88, v54, v85
	v_add_f16_e32 v90, v87, v89
	;; [unrolled: 1-line block ×4, first 2 shown]
	v_sub_f16_e32 v59, v74, v83
	v_sub_f16_e32 v34, v34, v66
	v_fma_f16 v60, -0.5, v3, v48
	v_sub_f16_e32 v63, v65, v68
	v_sub_f16_e32 v64, v82, v77
	;; [unrolled: 1-line block ×4, first 2 shown]
	v_add_f16_e32 v76, v14, v28
	v_add_f16_e32 v80, v13, v33
	v_sub_f16_e32 v84, v14, v13
	v_sub_f16_e32 v86, v28, v33
	v_add_f16_e32 v109, v31, v36
	v_fmac_f16_e32 v48, -0.5, v15
	v_add_f16_e32 v94, v85, v91
	v_sub_f16_e32 v92, v85, v87
	v_sub_f16_e32 v95, v87, v85
	v_sub_f16_e32 v65, v65, v82
	v_sub_f16_e32 v108, v68, v77
	v_sub_f16_e32 v110, v31, v36
	v_sub_f16_e32 v111, v87, v89
	v_sub_f16_e32 v112, v13, v33
	v_add_f16_e32 v13, v8, v1
	v_add_f16_e32 v114, v9, v0
	;; [unrolled: 1-line block ×6, first 2 shown]
	v_fma_f16 v58, -0.5, v58, v55
	v_fmac_f16_e32 v55, -0.5, v67
	v_add_f16_e32 v67, v78, v79
	v_fma_f16 v78, -0.5, v90, v54
	v_fmamk_f16 v90, v39, 0x3b9c, v56
	v_fmac_f16_e32 v56, 0xbb9c, v39
	v_add_f16_e32 v26, v105, v12
	v_add_f16_e32 v57, v57, v68
	;; [unrolled: 1-line block ×4, first 2 shown]
	v_fma_f16 v87, -0.5, v106, v24
	v_sub_f16_e32 v107, v12, v35
	v_add_f16_e32 v63, v63, v64
	v_add_f16_e32 v64, v73, v74
	v_fma_f16 v73, -0.5, v76, v25
	v_fmac_f16_e32 v25, -0.5, v80
	v_add_f16_e32 v74, v84, v86
	v_fmamk_f16 v80, v59, 0x3b9c, v60
	v_fmamk_f16 v86, v34, 0xbb9c, v37
	v_fmac_f16_e32 v37, 0x3b9c, v34
	v_fma_f16 v88, -0.5, v109, v24
	v_fmamk_f16 v84, v23, 0xbb9c, v48
	v_fmac_f16_e32 v48, 0x3b9c, v23
	v_sub_f16_e32 v85, v85, v91
	v_add_f16_e32 v81, v10, v81
	v_fmac_f16_e32 v60, 0xbb9c, v59
	v_sub_f16_e32 v93, v91, v89
	v_sub_f16_e32 v113, v14, v28
	v_fmac_f16_e32 v54, -0.5, v94
	v_sub_f16_e32 v32, v12, v31
	v_sub_f16_e32 v53, v35, v36
	;; [unrolled: 1-line block ×6, first 2 shown]
	v_fma_f16 v12, -0.5, v13, v22
	v_fma_f16 v13, -0.5, v114, v22
	;; [unrolled: 1-line block ×4, first 2 shown]
	v_add_f16_e32 v38, v38, v66
	v_fmac_f16_e32 v90, 0xb8b4, v34
	v_fmac_f16_e32 v56, 0x38b4, v34
	v_add_f16_e32 v34, v26, v35
	v_add_f16_e32 v35, v57, v77
	;; [unrolled: 1-line block ×3, first 2 shown]
	v_fmamk_f16 v66, v65, 0x3b9c, v87
	v_fmamk_f16 v75, v110, 0xbb9c, v58
	v_fmac_f16_e32 v80, 0x38b4, v23
	v_fmac_f16_e32 v86, 0xb8b4, v39
	;; [unrolled: 1-line block ×3, first 2 shown]
	v_add_f16_e32 v39, v68, v28
	v_fmamk_f16 v68, v108, 0xbb9c, v88
	v_fmac_f16_e32 v88, 0x3b9c, v108
	v_fmamk_f16 v77, v107, 0x3b9c, v55
	v_fmac_f16_e32 v55, 0xbb9c, v107
	v_fmac_f16_e32 v84, 0x38b4, v59
	;; [unrolled: 1-line block ×5, first 2 shown]
	v_sub_f16_e32 v96, v89, v91
	v_fmac_f16_e32 v60, 0xb8b4, v23
	v_add_f16_e32 v59, v81, v83
	v_fmamk_f16 v81, v85, 0x3b9c, v73
	v_fmamk_f16 v89, v112, 0xbb9c, v78
	v_add_f16_e32 v76, v92, v93
	v_fmamk_f16 v83, v111, 0xbb9c, v25
	v_fmac_f16_e32 v25, 0x3b9c, v111
	v_fmamk_f16 v92, v113, 0x3b9c, v54
	v_fmac_f16_e32 v54, 0xbb9c, v113
	v_sub_f16_e32 v97, v9, v8
	v_sub_f16_e32 v98, v0, v1
	;; [unrolled: 1-line block ×8, first 2 shown]
	v_fmac_f16_e32 v73, 0xbb9c, v85
	v_fmac_f16_e32 v78, 0x3b9c, v112
	v_fmamk_f16 v23, v15, 0x3b9c, v12
	v_fmamk_f16 v24, v30, 0xbb9c, v13
	;; [unrolled: 1-line block ×4, first 2 shown]
	v_fmac_f16_e32 v66, 0x38b4, v108
	v_fmac_f16_e32 v75, 0xb8b4, v107
	v_add_f16_e32 v53, v32, v53
	v_fmac_f16_e32 v80, 0x34f2, v61
	v_fmac_f16_e32 v86, 0x34f2, v51
	;; [unrolled: 1-line block ×16, first 2 shown]
	v_add_f16_e32 v79, v95, v96
	v_fmac_f16_e32 v83, 0x38b4, v85
	v_fmac_f16_e32 v25, 0xb8b4, v85
	;; [unrolled: 1-line block ×4, first 2 shown]
	v_add_f16_e32 v32, v97, v98
	v_add_f16_e32 v31, v99, v100
	;; [unrolled: 1-line block ×6, first 2 shown]
	v_fmac_f16_e32 v73, 0xb8b4, v111
	v_fmac_f16_e32 v78, 0x38b4, v113
	;; [unrolled: 1-line block ×8, first 2 shown]
	v_add_f16_e32 v33, v39, v33
	v_add_f16_e32 v36, v57, v91
	v_pack_b32_f16 v38, v38, v59
	v_fmac_f16_e32 v68, 0x34f2, v53
	v_fmac_f16_e32 v88, 0x34f2, v53
	;; [unrolled: 1-line block ×4, first 2 shown]
	v_pack_b32_f16 v39, v80, v86
	v_fmac_f16_e32 v87, 0x34f2, v117
	v_fmac_f16_e32 v58, 0x34f2, v63
	v_pack_b32_f16 v51, v84, v90
	v_pack_b32_f16 v48, v48, v56
	v_fmac_f16_e32 v81, 0x34f2, v67
	v_fmac_f16_e32 v89, 0x34f2, v76
	v_pack_b32_f16 v37, v60, v37
	v_fmac_f16_e32 v83, 0x34f2, v74
	v_fmac_f16_e32 v25, 0x34f2, v74
	;; [unrolled: 1-line block ×10, first 2 shown]
	v_pack_b32_f16 v34, v34, v35
	v_pack_b32_f16 v35, v66, v75
	;; [unrolled: 1-line block ×3, first 2 shown]
	ds_write2_b32 v70, v38, v39 offset1:5
	ds_write2_b32 v70, v51, v48 offset0:10 offset1:15
	ds_write_b32 v70, v37 offset:80
	v_pack_b32_f16 v36, v68, v77
	v_pack_b32_f16 v37, v88, v55
	;; [unrolled: 1-line block ×7, first 2 shown]
	ds_write2_b32 v71, v34, v35 offset1:5
	ds_write2_b32 v71, v36, v37 offset0:10 offset1:15
	ds_write_b32 v71, v38 offset:80
	ds_write2_b32 v72, v33, v39 offset1:5
	ds_write2_b32 v72, v48, v25 offset0:10 offset1:15
	ds_write_b32 v72, v51 offset:80
	s_and_saveexec_b32 s1, s0
	s_cbranch_execz .LBB0_24
; %bb.23:
	v_add_f16_e32 v7, v69, v7
	v_add_f16_e32 v9, v22, v9
	v_mul_f16_e32 v33, 0x38b4, v30
	v_mul_f16_e32 v30, 0x3b9c, v30
	;; [unrolled: 1-line block ×3, first 2 shown]
	v_add_f16_e32 v6, v7, v6
	v_add_f16_e32 v7, v9, v8
	v_and_b32_e32 v8, 0xff, v46
	v_mul_f16_e32 v31, 0x3b9c, v2
	v_mul_f16_e32 v34, 0x38b4, v3
	v_add_f16_e32 v5, v6, v5
	v_add_f16_e32 v1, v7, v1
	v_mul_lo_u16 v6, 0xcd, v8
	v_mul_f16_e32 v3, 0x3b9c, v3
	v_mul_f16_e32 v25, 0x3b9c, v15
	;; [unrolled: 1-line block ×3, first 2 shown]
	v_add_f16_e32 v0, v1, v0
	v_lshrrev_b16 v1, 10, v6
	v_mul_f16_e32 v2, 0x38b4, v2
	v_add_f16_e32 v4, v5, v4
	v_sub_f16_e32 v3, v29, v3
	v_add_f16_e32 v5, v14, v31
	v_add_f16_e32 v6, v30, v13
	v_sub_f16_e32 v8, v12, v25
	v_and_b32_e32 v1, 0xffff, v1
	v_mul_f16_e32 v7, 0x34f2, v10
	v_add_f16_e32 v2, v2, v3
	v_add_f16_e32 v3, v34, v5
	v_sub_f16_e32 v5, v6, v15
	v_mul_f16_e32 v32, 0x34f2, v32
	v_mul_f16_e32 v9, 0x34f2, v11
	v_sub_f16_e32 v6, v8, v33
	v_mad_u32_u24 v1, 0x64, v1, 0
	v_lshlrev_b32_sdwa v8, v49, v50 dst_sel:DWORD dst_unused:UNUSED_PAD src0_sel:DWORD src1_sel:WORD_0
	v_add_f16_e32 v2, v7, v2
	v_add_f16_e32 v5, v22, v5
	;; [unrolled: 1-line block ×4, first 2 shown]
	v_add3_u32 v1, v1, v8, v43
	v_pack_b32_f16 v0, v0, v4
	v_perm_b32 v4, v26, v23, 0x5040100
	v_perm_b32 v7, v28, v24, 0x5040100
	v_pack_b32_f16 v2, v5, v2
	v_pack_b32_f16 v3, v6, v3
	ds_write2_b32 v1, v0, v4 offset1:5
	ds_write2_b32 v1, v7, v2 offset0:10 offset1:15
	ds_write_b32 v1, v3 offset:80
.LBB0_24:
	s_or_b32 exec_lo, exec_lo, s1
	v_mul_lo_u16 v0, v47, 41
	v_mov_b32_e32 v1, 15
	s_waitcnt lgkmcnt(0)
	s_barrier
	buffer_gl0_inv
	v_lshrrev_b16 v25, 10, v0
	v_add_nc_u32_e32 v22, 0x400, v19
	v_add_nc_u32_e32 v4, 0xc00, v19
	;; [unrolled: 1-line block ×4, first 2 shown]
	v_mul_lo_u16 v0, v25, 25
	v_and_b32_e32 v25, 0xffff, v25
	v_add_nc_u32_e32 v57, 0x1000, v19
	v_cmp_gt_u32_e64 s0, 25, v18
	v_sub_nc_u16 v39, v18, v0
	v_mad_u32_u24 v25, 0x640, v25, 0
	v_mul_u32_u24_sdwa v0, v39, v1 dst_sel:DWORD dst_unused:UNUSED_PAD src0_sel:BYTE_0 src1_sel:DWORD
	v_add_nc_u32_e32 v1, 0x800, v19
	v_lshlrev_b32_sdwa v39, v49, v39 dst_sel:DWORD dst_unused:UNUSED_PAD src0_sel:DWORD src1_sel:BYTE_0
	v_lshlrev_b32_e32 v0, 2, v0
	s_clause 0x3
	global_load_dwordx4 v[5:8], v0, s[12:13] offset:80
	global_load_dwordx4 v[9:12], v0, s[12:13] offset:96
	;; [unrolled: 1-line block ×3, first 2 shown]
	global_load_dwordx3 v[13:15], v0, s[12:13] offset:128
	v_add_nc_u32_e32 v0, 0x200, v19
	ds_read2_b32 v[2:3], v19 offset0:75 offset1:150
	ds_read_b32 v54, v19 offset:4500
	ds_read_b32 v55, v42
	ds_read2_b32 v[33:34], v0 offset0:97 offset1:172
	ds_read2_b32 v[35:36], v22 offset0:119 offset1:194
	;; [unrolled: 1-line block ×6, first 2 shown]
	v_add3_u32 v39, v25, v39, v43
	s_waitcnt vmcnt(0) lgkmcnt(0)
	s_barrier
	buffer_gl0_inv
	v_add_nc_u32_e32 v43, 0x200, v39
	v_add_nc_u32_e32 v72, 0x400, v39
	v_lshrrev_b32_e32 v59, 16, v2
	v_lshrrev_b32_e32 v58, 16, v54
	;; [unrolled: 1-line block ×16, first 2 shown]
	v_mul_f16_sdwa v73, v5, v59 dst_sel:DWORD dst_unused:UNUSED_PAD src0_sel:WORD_1 src1_sel:DWORD
	v_mul_f16_sdwa v74, v5, v2 dst_sel:DWORD dst_unused:UNUSED_PAD src0_sel:WORD_1 src1_sel:DWORD
	;; [unrolled: 1-line block ×6, first 2 shown]
	v_mul_f16_sdwa v79, v49, v8 dst_sel:DWORD dst_unused:UNUSED_PAD src0_sel:DWORD src1_sel:WORD_1
	v_mul_f16_sdwa v80, v34, v8 dst_sel:DWORD dst_unused:UNUSED_PAD src0_sel:DWORD src1_sel:WORD_1
	;; [unrolled: 1-line block ×24, first 2 shown]
	v_fma_f16 v2, v5, v2, -v73
	v_fma_f16 v3, v6, v3, -v75
	v_fmac_f16_e32 v74, v5, v59
	v_fmac_f16_e32 v76, v6, v60
	;; [unrolled: 1-line block ×3, first 2 shown]
	v_fma_f16 v5, v7, v33, -v77
	v_fma_f16 v6, v34, v8, -v79
	v_fmac_f16_e32 v80, v49, v8
	v_fma_f16 v7, v35, v9, -v81
	v_fmac_f16_e32 v82, v62, v9
	;; [unrolled: 2-line block ×12, first 2 shown]
	v_sub_f16_e32 v10, v55, v10
	v_sub_f16_e32 v15, v61, v88
	;; [unrolled: 1-line block ×16, first 2 shown]
	v_fma_f16 v47, v61, 2.0, -v15
	v_fma_f16 v6, v6, 2.0, -v29
	;; [unrolled: 1-line block ×12, first 2 shown]
	v_sub_f16_e32 v31, v10, v31
	v_add_f16_e32 v29, v15, v29
	v_sub_f16_e32 v33, v12, v33
	v_add_f16_e32 v13, v32, v13
	v_sub_f16_e32 v35, v11, v35
	v_add_f16_e32 v30, v34, v30
	v_sub_f16_e32 v37, v25, v37
	v_add_f16_e32 v14, v36, v14
	v_fma_f16 v38, v55, 2.0, -v10
	v_fma_f16 v3, v3, 2.0, -v12
	;; [unrolled: 1-line block ×4, first 2 shown]
	v_sub_f16_e32 v48, v47, v48
	v_fma_f16 v10, v10, 2.0, -v31
	v_fma_f16 v15, v15, 2.0, -v29
	v_sub_f16_e32 v50, v49, v50
	v_fma_f16 v12, v12, 2.0, -v33
	v_fma_f16 v32, v32, 2.0, -v13
	;; [unrolled: 3-line block ×4, first 2 shown]
	v_fmamk_f16 v55, v33, 0x39a8, v31
	v_fmamk_f16 v58, v13, 0x39a8, v29
	v_sub_f16_e32 v6, v38, v6
	v_sub_f16_e32 v8, v3, v8
	v_sub_f16_e32 v7, v2, v7
	v_sub_f16_e32 v9, v5, v9
	v_fmamk_f16 v59, v37, 0x39a8, v35
	v_fmamk_f16 v60, v14, 0x39a8, v30
	v_fma_f16 v47, v47, 2.0, -v48
	v_fma_f16 v49, v49, 2.0, -v50
	;; [unrolled: 1-line block ×4, first 2 shown]
	v_fmamk_f16 v61, v12, 0xb9a8, v10
	v_fmamk_f16 v62, v32, 0xb9a8, v15
	v_fmac_f16_e32 v55, 0xb9a8, v13
	v_fmac_f16_e32 v58, 0x39a8, v33
	v_fmamk_f16 v13, v25, 0xb9a8, v11
	v_fmamk_f16 v33, v36, 0xb9a8, v34
	v_fma_f16 v3, v3, 2.0, -v8
	v_fma_f16 v5, v5, 2.0, -v9
	v_sub_f16_e32 v50, v6, v50
	v_add_f16_e32 v8, v48, v8
	v_sub_f16_e32 v54, v7, v54
	v_add_f16_e32 v9, v52, v9
	v_fmac_f16_e32 v59, 0xb9a8, v14
	v_fmac_f16_e32 v60, 0x39a8, v37
	v_fma_f16 v38, v38, 2.0, -v6
	v_fma_f16 v2, v2, 2.0, -v7
	v_sub_f16_e32 v14, v47, v49
	v_fmac_f16_e32 v61, 0xb9a8, v32
	v_fmac_f16_e32 v62, 0x39a8, v12
	v_sub_f16_e32 v37, v51, v53
	v_fmac_f16_e32 v13, 0xb9a8, v36
	v_fmac_f16_e32 v33, 0x39a8, v25
	v_fma_f16 v6, v6, 2.0, -v50
	v_fma_f16 v12, v48, 2.0, -v8
	;; [unrolled: 1-line block ×8, first 2 shown]
	v_sub_f16_e32 v3, v38, v3
	v_sub_f16_e32 v5, v2, v5
	v_fmamk_f16 v48, v54, 0x39a8, v50
	v_fmamk_f16 v49, v9, 0x39a8, v8
	;; [unrolled: 1-line block ×4, first 2 shown]
	v_fma_f16 v47, v47, 2.0, -v14
	v_fma_f16 v10, v10, 2.0, -v61
	;; [unrolled: 1-line block ×6, first 2 shown]
	v_fmamk_f16 v52, v7, 0xb9a8, v6
	v_fmamk_f16 v53, v36, 0xb9a8, v12
	v_fmamk_f16 v63, v35, 0xb61f, v31
	v_fmamk_f16 v64, v30, 0xb61f, v32
	v_fmamk_f16 v65, v13, 0x361f, v61
	v_fmamk_f16 v66, v33, 0x361f, v62
	v_fma_f16 v2, v2, 2.0, -v5
	v_sub_f16_e32 v37, v3, v37
	v_add_f16_e32 v5, v14, v5
	v_fmac_f16_e32 v48, 0xb9a8, v9
	v_fmac_f16_e32 v49, 0x39a8, v54
	;; [unrolled: 1-line block ×4, first 2 shown]
	v_fma_f16 v38, v38, 2.0, -v3
	v_sub_f16_e32 v9, v47, v51
	v_fmamk_f16 v51, v11, 0xbb64, v10
	v_fmamk_f16 v54, v34, 0xbb64, v15
	v_fmac_f16_e32 v52, 0xb9a8, v36
	v_fmac_f16_e32 v53, 0x39a8, v7
	;; [unrolled: 1-line block ×6, first 2 shown]
	v_fma_f16 v3, v3, 2.0, -v37
	v_fma_f16 v7, v14, 2.0, -v5
	;; [unrolled: 1-line block ×6, first 2 shown]
	v_sub_f16_e32 v2, v38, v2
	v_fmac_f16_e32 v51, 0xb61f, v34
	v_fmac_f16_e32 v54, 0x361f, v11
	v_fma_f16 v6, v6, 2.0, -v52
	v_fma_f16 v11, v12, 2.0, -v53
	;; [unrolled: 1-line block ×6, first 2 shown]
	v_pack_b32_f16 v3, v3, v7
	v_pack_b32_f16 v7, v13, v8
	;; [unrolled: 1-line block ×4, first 2 shown]
	v_fma_f16 v36, v38, 2.0, -v2
	v_fma_f16 v37, v47, 2.0, -v9
	;; [unrolled: 1-line block ×4, first 2 shown]
	v_pack_b32_f16 v33, v48, v49
	v_pack_b32_f16 v35, v25, v29
	;; [unrolled: 1-line block ×9, first 2 shown]
	ds_write2_b32 v39, v7, v8 offset0:150 offset1:175
	v_pack_b32_f16 v7, v51, v54
	v_pack_b32_f16 v30, v36, v37
	;; [unrolled: 1-line block ×3, first 2 shown]
	ds_write2_b32 v72, v33, v35 offset0:94 offset1:119
	ds_write2_b32 v43, v9, v13 offset0:122 offset1:147
	;; [unrolled: 1-line block ×6, first 2 shown]
	ds_write2_b32 v39, v30, v8 offset1:25
	s_waitcnt lgkmcnt(0)
	s_barrier
	buffer_gl0_inv
	ds_read_b32 v30, v42
	ds_read2_b32 v[14:15], v22 offset0:144 offset1:219
	ds_read2_b32 v[6:7], v56 offset0:60 offset1:160
	;; [unrolled: 1-line block ×7, first 2 shown]
	s_and_saveexec_b32 s1, s0
	s_cbranch_execz .LBB0_26
; %bb.25:
	ds_read_b32 v25, v19 offset:1500
	ds_read_b32 v23, v19 offset:3100
	ds_read_b32 v24, v19 offset:4700
	s_waitcnt lgkmcnt(2)
	v_lshrrev_b32_e32 v29, 16, v25
	s_waitcnt lgkmcnt(1)
	v_lshrrev_b32_e32 v26, 16, v23
	;; [unrolled: 2-line block ×3, first 2 shown]
.LBB0_26:
	s_or_b32 exec_lo, exec_lo, s1
	v_mov_b32_e32 v5, 0
	v_lshlrev_b32_e32 v4, 1, v18
	v_lshlrev_b32_e32 v33, 1, v27
	;; [unrolled: 1-line block ×4, first 2 shown]
	v_mov_b32_e32 v34, v5
	v_lshlrev_b64 v[31:32], 2, v[4:5]
	v_mov_b32_e32 v36, v5
	v_mov_b32_e32 v38, v5
	v_add_nc_u32_e32 v4, 0x258, v4
	v_lshlrev_b64 v[33:34], 2, v[33:34]
	s_waitcnt lgkmcnt(5)
	v_lshrrev_b32_e32 v54, 16, v7
	v_add_co_u32 v31, s1, s12, v31
	v_lshlrev_b64 v[35:36], 2, v[35:36]
	v_add_co_ci_u32_e64 v32, s1, s13, v32, s1
	v_add_co_u32 v33, s1, s12, v33
	v_lshlrev_b64 v[37:38], 2, v[37:38]
	v_add_co_ci_u32_e64 v34, s1, s13, v34, s1
	;; [unrolled: 3-line block ×3, first 2 shown]
	v_add_co_u32 v37, s1, s12, v37
	global_load_dwordx2 v[31:32], v[31:32], off offset:1580
	v_add_co_ci_u32_e64 v38, s1, s13, v38, s1
	v_add_co_u32 v42, s1, s12, v42
	v_add_co_ci_u32_e64 v43, s1, s13, v43, s1
	s_clause 0x3
	global_load_dwordx2 v[33:34], v[33:34], off offset:1580
	global_load_dwordx2 v[35:36], v[35:36], off offset:1580
	global_load_dwordx2 v[37:38], v[37:38], off offset:1580
	global_load_dwordx2 v[42:43], v[42:43], off offset:1580
	v_lshrrev_b32_e32 v55, 16, v14
	s_waitcnt lgkmcnt(3)
	v_lshrrev_b32_e32 v50, 16, v13
	s_waitcnt lgkmcnt(2)
	v_lshrrev_b32_e32 v51, 16, v10
	v_lshrrev_b32_e32 v52, 16, v12
	v_lshrrev_b32_e32 v53, 16, v15
	s_waitcnt lgkmcnt(0)
	v_lshrrev_b32_e32 v45, 16, v8
	v_lshrrev_b32_e32 v47, 16, v6
	;; [unrolled: 1-line block ×6, first 2 shown]
	v_lshl_add_u32 v4, v41, 2, v44
	v_lshrrev_b32_e32 v41, 16, v3
	v_lshrrev_b32_e32 v44, 16, v0
	;; [unrolled: 1-line block ×3, first 2 shown]
	s_waitcnt vmcnt(0)
	v_add_nc_u32_e32 v56, 0x600, v4
	s_barrier
	buffer_gl0_inv
	v_add_nc_u32_e32 v57, 0xc00, v4
	v_add_nc_u32_e32 v58, 0x800, v4
	;; [unrolled: 1-line block ×3, first 2 shown]
	v_mul_f16_sdwa v59, v31, v55 dst_sel:DWORD dst_unused:UNUSED_PAD src0_sel:WORD_1 src1_sel:DWORD
	v_mul_f16_sdwa v60, v31, v14 dst_sel:DWORD dst_unused:UNUSED_PAD src0_sel:WORD_1 src1_sel:DWORD
	;; [unrolled: 1-line block ×4, first 2 shown]
	v_fma_f16 v14, v31, v14, -v59
	v_fmac_f16_e32 v60, v31, v55
	v_fma_f16 v7, v32, v7, -v61
	v_fmac_f16_e32 v62, v32, v54
	v_mul_f16_sdwa v31, v33, v53 dst_sel:DWORD dst_unused:UNUSED_PAD src0_sel:WORD_1 src1_sel:DWORD
	v_mul_f16_sdwa v32, v33, v15 dst_sel:DWORD dst_unused:UNUSED_PAD src0_sel:WORD_1 src1_sel:DWORD
	;; [unrolled: 1-line block ×10, first 2 shown]
	v_mul_f16_sdwa v67, v45, v38 dst_sel:DWORD dst_unused:UNUSED_PAD src0_sel:DWORD src1_sel:WORD_1
	v_mul_f16_sdwa v68, v8, v38 dst_sel:DWORD dst_unused:UNUSED_PAD src0_sel:DWORD src1_sel:WORD_1
	;; [unrolled: 1-line block ×6, first 2 shown]
	v_fma_f16 v15, v33, v15, -v31
	v_fmac_f16_e32 v32, v33, v53
	v_fma_f16 v12, v34, v12, -v54
	v_fmac_f16_e32 v55, v34, v52
	;; [unrolled: 2-line block ×4, first 2 shown]
	v_add_f16_e32 v31, v30, v14
	v_add_f16_e32 v33, v14, v7
	;; [unrolled: 1-line block ×4, first 2 shown]
	v_fma_f16 v11, v37, v11, -v65
	v_fmac_f16_e32 v66, v37, v49
	v_fma_f16 v8, v8, v38, -v67
	v_fmac_f16_e32 v68, v45, v38
	v_fma_f16 v6, v6, v42, -v69
	v_fmac_f16_e32 v70, v47, v42
	v_fma_f16 v9, v9, v43, -v71
	v_fmac_f16_e32 v72, v48, v43
	v_sub_f16_e32 v34, v60, v62
	v_sub_f16_e32 v14, v14, v7
	v_add_f16_e32 v7, v31, v7
	v_fmac_f16_e32 v30, -0.5, v33
	v_add_f16_e32 v31, v35, v62
	v_fmac_f16_e32 v27, -0.5, v36
	v_add_f16_e32 v35, v15, v12
	v_sub_f16_e32 v36, v32, v55
	v_add_f16_e32 v37, v39, v32
	v_add_f16_e32 v32, v32, v55
	v_add_f16_e32 v42, v10, v13
	v_add_f16_e32 v47, v61, v64
	v_add_f16_e32 v33, v2, v15
	v_add_f16_e32 v38, v3, v10
	v_sub_f16_e32 v43, v61, v64
	v_add_f16_e32 v45, v41, v61
	v_add_f16_e32 v48, v0, v11
	;; [unrolled: 1-line block ×9, first 2 shown]
	v_sub_f16_e32 v15, v15, v12
	v_sub_f16_e32 v10, v10, v13
	v_fmamk_f16 v62, v34, 0x3aee, v30
	v_fmac_f16_e32 v30, 0xbaee, v34
	v_fmamk_f16 v34, v14, 0xbaee, v27
	v_fmac_f16_e32 v27, 0x3aee, v14
	v_fma_f16 v2, -0.5, v35, v2
	v_fmac_f16_e32 v39, -0.5, v32
	v_fmac_f16_e32 v3, -0.5, v42
	;; [unrolled: 1-line block ×3, first 2 shown]
	v_add_f16_e32 v12, v33, v12
	v_add_f16_e32 v14, v37, v55
	v_sub_f16_e32 v50, v66, v68
	v_sub_f16_e32 v11, v11, v8
	;; [unrolled: 1-line block ×4, first 2 shown]
	v_add_f16_e32 v13, v38, v13
	v_add_f16_e32 v32, v45, v64
	;; [unrolled: 1-line block ×3, first 2 shown]
	v_fma_f16 v0, -0.5, v49, v0
	v_add_f16_e32 v33, v51, v68
	v_fmac_f16_e32 v44, -0.5, v52
	v_fmac_f16_e32 v1, -0.5, v54
	;; [unrolled: 1-line block ×3, first 2 shown]
	v_add_f16_e32 v9, v53, v9
	v_add_f16_e32 v35, v60, v72
	v_pack_b32_f16 v7, v7, v31
	v_fmamk_f16 v31, v36, 0x3aee, v2
	v_fmac_f16_e32 v2, 0xbaee, v36
	v_fmamk_f16 v36, v15, 0xbaee, v39
	v_fmac_f16_e32 v39, 0x3aee, v15
	v_fmamk_f16 v15, v43, 0x3aee, v3
	v_fmamk_f16 v37, v10, 0xbaee, v41
	v_pack_b32_f16 v27, v30, v27
	v_fmac_f16_e32 v3, 0xbaee, v43
	v_fmac_f16_e32 v41, 0x3aee, v10
	v_pack_b32_f16 v12, v12, v14
	v_fmamk_f16 v10, v50, 0x3aee, v0
	v_fmamk_f16 v38, v11, 0xbaee, v44
	v_fmac_f16_e32 v44, 0x3aee, v11
	v_fmamk_f16 v11, v59, 0x3aee, v1
	v_fmamk_f16 v42, v6, 0xbaee, v46
	v_pack_b32_f16 v13, v13, v32
	v_pack_b32_f16 v8, v8, v33
	v_fmac_f16_e32 v0, 0xbaee, v50
	v_fmac_f16_e32 v1, 0xbaee, v59
	;; [unrolled: 1-line block ×3, first 2 shown]
	v_pack_b32_f16 v6, v62, v34
	v_pack_b32_f16 v9, v9, v35
	ds_write_b32 v19, v27 offset:3200
	ds_write2_b32 v19, v7, v12 offset1:75
	v_pack_b32_f16 v7, v31, v36
	v_pack_b32_f16 v12, v15, v37
	;; [unrolled: 1-line block ×4, first 2 shown]
	ds_write2_b32 v19, v13, v8 offset0:150 offset1:225
	v_pack_b32_f16 v8, v10, v38
	v_pack_b32_f16 v10, v11, v42
	;; [unrolled: 1-line block ×4, first 2 shown]
	ds_write2_b32 v22, v9, v6 offset0:44 offset1:144
	ds_write2_b32 v56, v7, v12 offset0:91 offset1:166
	;; [unrolled: 1-line block ×5, first 2 shown]
	s_and_saveexec_b32 s1, s0
	s_cbranch_execz .LBB0_28
; %bb.27:
	v_mov_b32_e32 v0, 0x177
	v_cndmask_b32_e64 v0, 0xffffffe7, v0, s0
	v_add_lshl_u32 v4, v18, v0, 1
	v_lshlrev_b64 v[0:1], 2, v[4:5]
	v_add_co_u32 v0, s0, s12, v0
	v_add_co_ci_u32_e64 v1, s0, s13, v1, s0
	global_load_dwordx2 v[0:1], v[0:1], off offset:1580
	s_waitcnt vmcnt(0)
	v_mul_f16_sdwa v2, v24, v1 dst_sel:DWORD dst_unused:UNUSED_PAD src0_sel:DWORD src1_sel:WORD_1
	v_mul_f16_sdwa v3, v23, v0 dst_sel:DWORD dst_unused:UNUSED_PAD src0_sel:DWORD src1_sel:WORD_1
	;; [unrolled: 1-line block ×4, first 2 shown]
	v_fmac_f16_e32 v2, v28, v1
	v_fmac_f16_e32 v3, v26, v0
	v_fma_f16 v0, v23, v0, -v4
	v_fma_f16 v1, v24, v1, -v5
	v_add_f16_e32 v4, v3, v2
	v_add_f16_e32 v5, v29, v3
	;; [unrolled: 1-line block ×4, first 2 shown]
	v_sub_f16_e32 v0, v0, v1
	v_fmac_f16_e32 v29, -0.5, v4
	v_sub_f16_e32 v3, v3, v2
	v_fmac_f16_e32 v25, -0.5, v6
	v_add_f16_e32 v2, v5, v2
	v_add_f16_e32 v1, v7, v1
	v_fmamk_f16 v4, v0, 0x3aee, v29
	v_fmac_f16_e32 v29, 0xbaee, v0
	v_fmamk_f16 v0, v3, 0xbaee, v25
	v_fmac_f16_e32 v25, 0x3aee, v3
	v_pack_b32_f16 v1, v1, v2
	v_pack_b32_f16 v0, v0, v4
	;; [unrolled: 1-line block ×3, first 2 shown]
	ds_write_b32 v19, v1 offset:1500
	ds_write_b32 v19, v2 offset:3100
	;; [unrolled: 1-line block ×3, first 2 shown]
.LBB0_28:
	s_or_b32 exec_lo, exec_lo, s1
	s_waitcnt lgkmcnt(0)
	s_barrier
	buffer_gl0_inv
	s_and_saveexec_b32 s0, vcc_lo
	s_cbranch_execz .LBB0_30
; %bb.29:
	v_mul_lo_u32 v2, s3, v20
	v_mul_lo_u32 v3, s2, v21
	v_mad_u64_u32 v[0:1], null, s2, v20, 0
	v_lshl_add_u32 v20, v18, 2, v40
	v_mov_b32_e32 v19, 0
	v_add_nc_u32_e32 v4, 0x4b, v18
	v_add_nc_u32_e32 v6, 0x96, v18
	ds_read2_b32 v[8:9], v20 offset1:75
	v_add3_u32 v1, v1, v3, v2
	v_lshlrev_b64 v[2:3], 2, v[16:17]
	v_mov_b32_e32 v5, v19
	ds_read2_b32 v[12:13], v20 offset0:150 offset1:225
	v_lshlrev_b64 v[10:11], 2, v[18:19]
	v_lshlrev_b64 v[0:1], 2, v[0:1]
	v_mov_b32_e32 v7, v19
	v_add_co_u32 v14, vcc_lo, s10, v0
	v_add_co_ci_u32_e32 v15, vcc_lo, s11, v1, vcc_lo
	v_lshlrev_b64 v[0:1], 2, v[4:5]
	v_add_co_u32 v16, vcc_lo, v14, v2
	v_add_co_ci_u32_e32 v17, vcc_lo, v15, v3, vcc_lo
	v_lshlrev_b64 v[2:3], 2, v[6:7]
	v_add_co_u32 v4, vcc_lo, v16, v10
	v_add_co_ci_u32_e32 v5, vcc_lo, v17, v11, vcc_lo
	v_add_co_u32 v0, vcc_lo, v16, v0
	v_add_co_ci_u32_e32 v1, vcc_lo, v17, v1, vcc_lo
	v_add_co_u32 v2, vcc_lo, v16, v2
	v_add_nc_u32_e32 v6, 0xe1, v18
	v_add_co_ci_u32_e32 v3, vcc_lo, v17, v3, vcc_lo
	s_waitcnt lgkmcnt(1)
	global_store_dword v[4:5], v8, off
	global_store_dword v[0:1], v9, off
	s_waitcnt lgkmcnt(0)
	global_store_dword v[2:3], v12, off
	v_lshlrev_b64 v[0:1], 2, v[6:7]
	v_add_nc_u32_e32 v6, 0x400, v20
	v_add_nc_u32_e32 v9, 0x600, v20
	;; [unrolled: 1-line block ×3, first 2 shown]
	v_mov_b32_e32 v3, v19
	v_add_nc_u32_e32 v4, 0x177, v18
	ds_read2_b32 v[6:7], v6 offset0:44 offset1:119
	v_mov_b32_e32 v5, v19
	ds_read2_b32 v[10:11], v9 offset0:66 offset1:141
	v_lshlrev_b64 v[2:3], 2, v[2:3]
	v_add_nc_u32_e32 v8, 0x1c2, v18
	v_mov_b32_e32 v9, v19
	v_add_co_u32 v0, vcc_lo, v16, v0
	v_lshlrev_b64 v[4:5], 2, v[4:5]
	v_add_co_ci_u32_e32 v1, vcc_lo, v17, v1, vcc_lo
	v_add_co_u32 v2, vcc_lo, v16, v2
	v_lshlrev_b64 v[8:9], 2, v[8:9]
	v_add_co_ci_u32_e32 v3, vcc_lo, v17, v3, vcc_lo
	v_add_co_u32 v4, vcc_lo, v16, v4
	v_add_co_ci_u32_e32 v5, vcc_lo, v17, v5, vcc_lo
	v_add_co_u32 v8, vcc_lo, v16, v8
	v_add_co_ci_u32_e32 v9, vcc_lo, v17, v9, vcc_lo
	v_add_nc_u32_e32 v14, 0x20d, v18
	v_mov_b32_e32 v15, v19
	global_store_dword v[0:1], v13, off
	s_waitcnt lgkmcnt(1)
	global_store_dword v[2:3], v6, off
	global_store_dword v[4:5], v7, off
	s_waitcnt lgkmcnt(0)
	global_store_dword v[8:9], v10, off
	v_add_nc_u32_e32 v6, 0x800, v20
	v_add_nc_u32_e32 v9, 0xa00, v20
	;; [unrolled: 1-line block ×3, first 2 shown]
	v_mov_b32_e32 v3, v19
	v_lshlrev_b64 v[0:1], 2, v[14:15]
	ds_read2_b32 v[6:7], v6 offset0:88 offset1:163
	v_add_nc_u32_e32 v4, 0x2a3, v18
	v_mov_b32_e32 v5, v19
	ds_read2_b32 v[12:13], v9 offset0:110 offset1:185
	v_lshlrev_b64 v[2:3], 2, v[2:3]
	v_add_nc_u32_e32 v8, 0x2ee, v18
	v_mov_b32_e32 v9, v19
	v_add_co_u32 v0, vcc_lo, v16, v0
	v_lshlrev_b64 v[4:5], 2, v[4:5]
	v_add_co_ci_u32_e32 v1, vcc_lo, v17, v1, vcc_lo
	v_add_co_u32 v2, vcc_lo, v16, v2
	v_lshlrev_b64 v[8:9], 2, v[8:9]
	v_add_co_ci_u32_e32 v3, vcc_lo, v17, v3, vcc_lo
	v_add_co_u32 v4, vcc_lo, v16, v4
	v_add_co_ci_u32_e32 v5, vcc_lo, v17, v5, vcc_lo
	v_add_co_u32 v8, vcc_lo, v16, v8
	v_add_co_ci_u32_e32 v9, vcc_lo, v17, v9, vcc_lo
	v_add_nc_u32_e32 v14, 0x339, v18
	global_store_dword v[0:1], v11, off
	s_waitcnt lgkmcnt(1)
	global_store_dword v[2:3], v6, off
	global_store_dword v[4:5], v7, off
	s_waitcnt lgkmcnt(0)
	global_store_dword v[8:9], v12, off
	v_add_nc_u32_e32 v6, 0xc00, v20
	v_add_nc_u32_e32 v2, 0x384, v18
	v_mov_b32_e32 v3, v19
	v_add_nc_u32_e32 v10, 0x1000, v20
	v_lshlrev_b64 v[0:1], 2, v[14:15]
	v_add_nc_u32_e32 v4, 0x3cf, v18
	v_mov_b32_e32 v5, v19
	ds_read2_b32 v[6:7], v6 offset0:132 offset1:207
	v_lshlrev_b64 v[2:3], 2, v[2:3]
	v_add_nc_u32_e32 v8, 0x41a, v18
	v_mov_b32_e32 v9, v19
	ds_read2_b32 v[10:11], v10 offset0:26 offset1:101
	v_add_co_u32 v0, vcc_lo, v16, v0
	v_lshlrev_b64 v[4:5], 2, v[4:5]
	v_add_nc_u32_e32 v18, 0x465, v18
	v_add_co_ci_u32_e32 v1, vcc_lo, v17, v1, vcc_lo
	v_add_co_u32 v2, vcc_lo, v16, v2
	v_lshlrev_b64 v[8:9], 2, v[8:9]
	v_add_co_ci_u32_e32 v3, vcc_lo, v17, v3, vcc_lo
	v_add_co_u32 v4, vcc_lo, v16, v4
	v_lshlrev_b64 v[14:15], 2, v[18:19]
	v_add_co_ci_u32_e32 v5, vcc_lo, v17, v5, vcc_lo
	v_add_co_u32 v8, vcc_lo, v16, v8
	v_add_co_ci_u32_e32 v9, vcc_lo, v17, v9, vcc_lo
	v_add_co_u32 v14, vcc_lo, v16, v14
	v_add_co_ci_u32_e32 v15, vcc_lo, v17, v15, vcc_lo
	global_store_dword v[0:1], v13, off
	s_waitcnt lgkmcnt(1)
	global_store_dword v[2:3], v6, off
	global_store_dword v[4:5], v7, off
	s_waitcnt lgkmcnt(0)
	global_store_dword v[8:9], v10, off
	global_store_dword v[14:15], v11, off
.LBB0_30:
	s_endpgm
	.section	.rodata,"a",@progbits
	.p2align	6, 0x0
	.amdhsa_kernel fft_rtc_fwd_len1200_factors_5_5_16_3_wgs_225_tpt_75_halfLds_half_op_CI_CI_unitstride_sbrr_C2R_dirReg
		.amdhsa_group_segment_fixed_size 0
		.amdhsa_private_segment_fixed_size 0
		.amdhsa_kernarg_size 104
		.amdhsa_user_sgpr_count 6
		.amdhsa_user_sgpr_private_segment_buffer 1
		.amdhsa_user_sgpr_dispatch_ptr 0
		.amdhsa_user_sgpr_queue_ptr 0
		.amdhsa_user_sgpr_kernarg_segment_ptr 1
		.amdhsa_user_sgpr_dispatch_id 0
		.amdhsa_user_sgpr_flat_scratch_init 0
		.amdhsa_user_sgpr_private_segment_size 0
		.amdhsa_wavefront_size32 1
		.amdhsa_uses_dynamic_stack 0
		.amdhsa_system_sgpr_private_segment_wavefront_offset 0
		.amdhsa_system_sgpr_workgroup_id_x 1
		.amdhsa_system_sgpr_workgroup_id_y 0
		.amdhsa_system_sgpr_workgroup_id_z 0
		.amdhsa_system_sgpr_workgroup_info 0
		.amdhsa_system_vgpr_workitem_id 0
		.amdhsa_next_free_vgpr 118
		.amdhsa_next_free_sgpr 27
		.amdhsa_reserve_vcc 1
		.amdhsa_reserve_flat_scratch 0
		.amdhsa_float_round_mode_32 0
		.amdhsa_float_round_mode_16_64 0
		.amdhsa_float_denorm_mode_32 3
		.amdhsa_float_denorm_mode_16_64 3
		.amdhsa_dx10_clamp 1
		.amdhsa_ieee_mode 1
		.amdhsa_fp16_overflow 0
		.amdhsa_workgroup_processor_mode 1
		.amdhsa_memory_ordered 1
		.amdhsa_forward_progress 0
		.amdhsa_shared_vgpr_count 0
		.amdhsa_exception_fp_ieee_invalid_op 0
		.amdhsa_exception_fp_denorm_src 0
		.amdhsa_exception_fp_ieee_div_zero 0
		.amdhsa_exception_fp_ieee_overflow 0
		.amdhsa_exception_fp_ieee_underflow 0
		.amdhsa_exception_fp_ieee_inexact 0
		.amdhsa_exception_int_div_zero 0
	.end_amdhsa_kernel
	.text
.Lfunc_end0:
	.size	fft_rtc_fwd_len1200_factors_5_5_16_3_wgs_225_tpt_75_halfLds_half_op_CI_CI_unitstride_sbrr_C2R_dirReg, .Lfunc_end0-fft_rtc_fwd_len1200_factors_5_5_16_3_wgs_225_tpt_75_halfLds_half_op_CI_CI_unitstride_sbrr_C2R_dirReg
                                        ; -- End function
	.section	.AMDGPU.csdata,"",@progbits
; Kernel info:
; codeLenInByte = 12092
; NumSgprs: 29
; NumVgprs: 118
; ScratchSize: 0
; MemoryBound: 0
; FloatMode: 240
; IeeeMode: 1
; LDSByteSize: 0 bytes/workgroup (compile time only)
; SGPRBlocks: 3
; VGPRBlocks: 14
; NumSGPRsForWavesPerEU: 29
; NumVGPRsForWavesPerEU: 118
; Occupancy: 8
; WaveLimiterHint : 1
; COMPUTE_PGM_RSRC2:SCRATCH_EN: 0
; COMPUTE_PGM_RSRC2:USER_SGPR: 6
; COMPUTE_PGM_RSRC2:TRAP_HANDLER: 0
; COMPUTE_PGM_RSRC2:TGID_X_EN: 1
; COMPUTE_PGM_RSRC2:TGID_Y_EN: 0
; COMPUTE_PGM_RSRC2:TGID_Z_EN: 0
; COMPUTE_PGM_RSRC2:TIDIG_COMP_CNT: 0
	.text
	.p2alignl 6, 3214868480
	.fill 48, 4, 3214868480
	.type	__hip_cuid_ac8419a307fe8ff3,@object ; @__hip_cuid_ac8419a307fe8ff3
	.section	.bss,"aw",@nobits
	.globl	__hip_cuid_ac8419a307fe8ff3
__hip_cuid_ac8419a307fe8ff3:
	.byte	0                               ; 0x0
	.size	__hip_cuid_ac8419a307fe8ff3, 1

	.ident	"AMD clang version 19.0.0git (https://github.com/RadeonOpenCompute/llvm-project roc-6.4.0 25133 c7fe45cf4b819c5991fe208aaa96edf142730f1d)"
	.section	".note.GNU-stack","",@progbits
	.addrsig
	.addrsig_sym __hip_cuid_ac8419a307fe8ff3
	.amdgpu_metadata
---
amdhsa.kernels:
  - .args:
      - .actual_access:  read_only
        .address_space:  global
        .offset:         0
        .size:           8
        .value_kind:     global_buffer
      - .offset:         8
        .size:           8
        .value_kind:     by_value
      - .actual_access:  read_only
        .address_space:  global
        .offset:         16
        .size:           8
        .value_kind:     global_buffer
      - .actual_access:  read_only
        .address_space:  global
        .offset:         24
        .size:           8
        .value_kind:     global_buffer
      - .actual_access:  read_only
        .address_space:  global
        .offset:         32
        .size:           8
        .value_kind:     global_buffer
      - .offset:         40
        .size:           8
        .value_kind:     by_value
      - .actual_access:  read_only
        .address_space:  global
        .offset:         48
        .size:           8
        .value_kind:     global_buffer
      - .actual_access:  read_only
        .address_space:  global
        .offset:         56
        .size:           8
        .value_kind:     global_buffer
      - .offset:         64
        .size:           4
        .value_kind:     by_value
      - .actual_access:  read_only
        .address_space:  global
        .offset:         72
        .size:           8
        .value_kind:     global_buffer
      - .actual_access:  read_only
        .address_space:  global
        .offset:         80
        .size:           8
        .value_kind:     global_buffer
      - .actual_access:  read_only
        .address_space:  global
        .offset:         88
        .size:           8
        .value_kind:     global_buffer
      - .actual_access:  write_only
        .address_space:  global
        .offset:         96
        .size:           8
        .value_kind:     global_buffer
    .group_segment_fixed_size: 0
    .kernarg_segment_align: 8
    .kernarg_segment_size: 104
    .language:       OpenCL C
    .language_version:
      - 2
      - 0
    .max_flat_workgroup_size: 225
    .name:           fft_rtc_fwd_len1200_factors_5_5_16_3_wgs_225_tpt_75_halfLds_half_op_CI_CI_unitstride_sbrr_C2R_dirReg
    .private_segment_fixed_size: 0
    .sgpr_count:     29
    .sgpr_spill_count: 0
    .symbol:         fft_rtc_fwd_len1200_factors_5_5_16_3_wgs_225_tpt_75_halfLds_half_op_CI_CI_unitstride_sbrr_C2R_dirReg.kd
    .uniform_work_group_size: 1
    .uses_dynamic_stack: false
    .vgpr_count:     118
    .vgpr_spill_count: 0
    .wavefront_size: 32
    .workgroup_processor_mode: 1
amdhsa.target:   amdgcn-amd-amdhsa--gfx1030
amdhsa.version:
  - 1
  - 2
...

	.end_amdgpu_metadata
